;; amdgpu-corpus repo=ROCm/rocSPARSE kind=compiled arch=gfx1250 opt=O3
	.amdgcn_target "amdgcn-amd-amdhsa--gfx1250"
	.amdhsa_code_object_version 6
	.section	.text._ZN9rocsparseL27csrsv_analysis_upper_kernelILj1024ELj64ELb1EiiEEvT3_PKT2_PKS1_PS2_PiS7_PS1_21rocsparse_index_base_20rocsparse_diag_type_,"axG",@progbits,_ZN9rocsparseL27csrsv_analysis_upper_kernelILj1024ELj64ELb1EiiEEvT3_PKT2_PKS1_PS2_PiS7_PS1_21rocsparse_index_base_20rocsparse_diag_type_,comdat
	.globl	_ZN9rocsparseL27csrsv_analysis_upper_kernelILj1024ELj64ELb1EiiEEvT3_PKT2_PKS1_PS2_PiS7_PS1_21rocsparse_index_base_20rocsparse_diag_type_ ; -- Begin function _ZN9rocsparseL27csrsv_analysis_upper_kernelILj1024ELj64ELb1EiiEEvT3_PKT2_PKS1_PS2_PiS7_PS1_21rocsparse_index_base_20rocsparse_diag_type_
	.p2align	8
	.type	_ZN9rocsparseL27csrsv_analysis_upper_kernelILj1024ELj64ELb1EiiEEvT3_PKT2_PKS1_PS2_PiS7_PS1_21rocsparse_index_base_20rocsparse_diag_type_,@function
_ZN9rocsparseL27csrsv_analysis_upper_kernelILj1024ELj64ELb1EiiEEvT3_PKT2_PKS1_PS2_PiS7_PS1_21rocsparse_index_base_20rocsparse_diag_type_: ; @_ZN9rocsparseL27csrsv_analysis_upper_kernelILj1024ELj64ELb1EiiEEvT3_PKT2_PKS1_PS2_PiS7_PS1_21rocsparse_index_base_20rocsparse_diag_type_
; %bb.0:
	s_load_b32 s12, s[0:1], 0x0
	s_bfe_u32 s2, ttmp6, 0x4000c
	s_and_b32 s3, ttmp6, 15
	s_add_co_i32 s2, s2, 1
	s_getreg_b32 s4, hwreg(HW_REG_IB_STS2, 6, 4)
	s_mul_i32 s2, ttmp9, s2
	v_dual_lshrrev_b32 v1, 6, v0 :: v_dual_mov_b32 v5, 0
	s_add_co_i32 s3, s3, s2
	s_cmp_eq_u32 s4, 0
	s_cselect_b32 s2, ttmp9, s3
	s_delay_alu instid0(SALU_CYCLE_1) | instskip(NEXT) | instid1(SALU_CYCLE_1)
	s_lshl_b32 s13, s2, 4
	s_not_b32 s2, s13
	s_wait_kmcnt 0x0
	s_add_co_i32 s14, s12, s2
	s_delay_alu instid0(SALU_CYCLE_1)
	v_dual_lshlrev_b32 v8, 2, v1 :: v_dual_sub_nc_u32 v2, s14, v1
	s_mov_b32 s2, exec_lo
	ds_store_b32 v8, v5
	s_wait_dscnt 0x0
	s_barrier_signal -1
	s_barrier_wait -1
	v_cmpx_lt_i32_e32 -1, v2
	s_cbranch_execz .LBB0_37
; %bb.1:
	s_clause 0x1
	s_load_b64 s[4:5], s[0:1], 0x18
	s_load_b64 s[2:3], s[0:1], 0x8
	v_dual_mov_b32 v3, v5 :: v_dual_bitop2_b32 v9, 63, v0 bitop3:0x40
	s_wait_kmcnt 0x0
	s_delay_alu instid0(VALU_DEP_1) | instskip(SKIP_1) | instid1(VALU_DEP_2)
	v_lshl_add_u64 v[0:1], v[2:3], 2, s[4:5]
	s_mov_b32 s4, exec_lo
	v_cmpx_eq_u32_e32 0, v9
	s_cbranch_execz .LBB0_3
; %bb.2:
	v_mov_b32_e32 v4, -1
	global_store_b32 v[0:1], v4, off
.LBB0_3:
	s_wait_xcnt 0x0
	s_or_b32 exec_lo, exec_lo, s4
	v_lshl_add_u64 v[6:7], v[2:3], 2, s[2:3]
	s_load_b256 s[4:11], s[0:1], 0x20
	s_mov_b32 s2, exec_lo
	global_load_b64 v[6:7], v[6:7], off
	s_wait_loadcnt 0x0
	s_wait_kmcnt 0x0
	v_subrev_nc_u32_e32 v10, s10, v7
	v_subrev_nc_u32_e32 v11, s10, v6
	s_wait_xcnt 0x0
	s_delay_alu instid0(VALU_DEP_2) | instskip(NEXT) | instid1(VALU_DEP_1)
	v_xad_u32 v6, v9, -1, v10
	v_cmpx_ge_i32_e64 v6, v11
	s_cbranch_execz .LBB0_27
; %bb.4:
	s_load_b64 s[0:1], s[0:1], 0x10
	v_mov_b32_e32 v5, 0
	s_mov_b32 s15, 0
                                        ; implicit-def: $sgpr3
                                        ; implicit-def: $sgpr17
                                        ; implicit-def: $sgpr16
	s_branch .LBB0_8
.LBB0_5:                                ;   in Loop: Header=BB0_8 Depth=1
	s_or_b32 exec_lo, exec_lo, s20
.LBB0_6:                                ;   in Loop: Header=BB0_8 Depth=1
	s_delay_alu instid0(SALU_CYCLE_1) | instskip(SKIP_4) | instid1(VALU_DEP_2)
	s_or_b32 exec_lo, exec_lo, s19
	v_subrev_nc_u32_e32 v6, 64, v13
	v_max_i32_e32 v5, v5, v12
	s_and_not1_b32 s17, s17, exec_lo
	s_and_not1_b32 s16, s16, exec_lo
	v_cmp_lt_i32_e32 vcc_lo, v6, v11
	s_and_b32 s19, vcc_lo, exec_lo
	s_delay_alu instid0(SALU_CYCLE_1)
	s_or_b32 s17, s17, s19
.LBB0_7:                                ;   in Loop: Header=BB0_8 Depth=1
	s_or_b32 exec_lo, exec_lo, s18
	s_delay_alu instid0(SALU_CYCLE_1) | instskip(NEXT) | instid1(SALU_CYCLE_1)
	s_and_b32 s18, exec_lo, s17
	s_or_b32 s15, s18, s15
	s_and_not1_b32 s3, s3, exec_lo
	s_and_b32 s18, s16, exec_lo
	s_delay_alu instid0(SALU_CYCLE_1)
	s_or_b32 s3, s3, s18
	s_and_not1_b32 exec_lo, exec_lo, s15
	s_cbranch_execz .LBB0_14
.LBB0_8:                                ; =>This Loop Header: Depth=1
                                        ;     Child Loop BB0_12 Depth 2
                                        ;       Child Loop BB0_13 Depth 3
	s_wait_kmcnt 0x0
	global_load_b32 v4, v6, s[0:1] scale_offset th:TH_LOAD_NT
	v_dual_mov_b32 v13, v6 :: v_dual_mov_b32 v12, v5
	s_or_b32 s16, s16, exec_lo
	s_or_b32 s17, s17, exec_lo
	s_mov_b32 s18, exec_lo
                                        ; implicit-def: $vgpr6
                                        ; implicit-def: $vgpr5
	s_wait_loadcnt 0x0
	v_subrev_nc_u32_e32 v4, s10, v4
	s_wait_xcnt 0x0
	s_delay_alu instid0(VALU_DEP_1)
	v_cmpx_lt_i32_e64 s14, v4
	s_cbranch_execz .LBB0_7
; %bb.9:                                ;   in Loop: Header=BB0_8 Depth=1
	global_load_b32 v5, v4, s[4:5] scale_offset scope:SCOPE_DEV
	s_mov_b32 s19, exec_lo
	s_wait_loadcnt 0x0
	v_cmpx_eq_u32_e32 0, v5
	s_cbranch_execz .LBB0_6
; %bb.10:                               ;   in Loop: Header=BB0_8 Depth=1
	v_ashrrev_i32_e32 v5, 31, v4
	s_mov_b32 s20, 0
	s_mov_b32 s21, 0
	s_delay_alu instid0(VALU_DEP_1)
	v_lshl_add_u64 v[6:7], v[4:5], 2, s[4:5]
	s_branch .LBB0_12
.LBB0_11:                               ;   in Loop: Header=BB0_12 Depth=2
	global_load_b32 v5, v[6:7], off scope:SCOPE_DEV
	s_cmp_lt_u32 s21, 0xf43
	s_cselect_b32 s22, -1, 0
	s_delay_alu instid0(SALU_CYCLE_1)
	s_cmp_lg_u32 s22, 0
	s_add_co_ci_u32 s21, s21, 0
	s_wait_loadcnt 0x0
	v_cmp_ne_u32_e32 vcc_lo, 0, v5
	s_or_b32 s20, vcc_lo, s20
	s_wait_xcnt 0x0
	s_and_not1_b32 exec_lo, exec_lo, s20
	s_cbranch_execz .LBB0_5
.LBB0_12:                               ;   Parent Loop BB0_8 Depth=1
                                        ; =>  This Loop Header: Depth=2
                                        ;       Child Loop BB0_13 Depth 3
	s_cmp_eq_u32 s21, 0
	s_mov_b32 s22, s21
	s_cbranch_scc1 .LBB0_11
.LBB0_13:                               ;   Parent Loop BB0_8 Depth=1
                                        ;     Parent Loop BB0_12 Depth=2
                                        ; =>    This Inner Loop Header: Depth=3
	s_add_co_i32 s22, s22, -1
	s_sleep 1
	s_cmp_eq_u32 s22, 0
	s_cbranch_scc0 .LBB0_13
	s_branch .LBB0_11
.LBB0_14:
	s_or_b32 exec_lo, exec_lo, s15
	s_and_saveexec_b32 s0, s3
	s_delay_alu instid0(SALU_CYCLE_1)
	s_xor_b32 s0, exec_lo, s0
	s_cbranch_execz .LBB0_26
; %bb.15:
	s_mov_b32 s1, exec_lo
	v_cmpx_eq_u32_e64 v4, v2
	s_cbranch_execz .LBB0_17
; %bb.16:
	global_store_b32 v[0:1], v13, off
.LBB0_17:
	s_wait_xcnt 0x0
	s_or_b32 exec_lo, exec_lo, s1
	s_delay_alu instid0(SALU_CYCLE_1)
	s_mov_b32 s1, exec_lo
	v_cmpx_gt_i32_e64 v4, v2
	s_cbranch_execz .LBB0_25
; %bb.18:
	s_xor_b32 s3, s13, 0x3ffffff0
	s_delay_alu instid0(SALU_CYCLE_1) | instskip(SKIP_3) | instid1(VALU_DEP_1)
	s_add_co_i32 s12, s12, s3
	s_mov_b32 s3, exec_lo
	v_sub_nc_u32_e32 v4, s12, v4
	s_mov_b32 s12, 0
	v_lshlrev_b32_e32 v4, 2, v4
	ds_load_b32 v5, v4 offset:60
	s_wait_dscnt 0x0
	v_cmpx_eq_u32_e32 0, v5
	s_cbranch_execz .LBB0_24
; %bb.19:
	s_mov_b32 s13, 0
	s_branch .LBB0_21
.LBB0_20:                               ;   in Loop: Header=BB0_21 Depth=1
	ds_load_b32 v5, v4 offset:60
	s_cmp_lt_u32 s13, 0xf43
	s_cselect_b32 s14, -1, 0
	s_delay_alu instid0(SALU_CYCLE_1) | instskip(SKIP_4) | instid1(SALU_CYCLE_1)
	s_cmp_lg_u32 s14, 0
	s_add_co_ci_u32 s13, s13, 0
	s_wait_dscnt 0x0
	v_cmp_ne_u32_e32 vcc_lo, 0, v5
	s_or_b32 s12, vcc_lo, s12
	s_and_not1_b32 exec_lo, exec_lo, s12
	s_cbranch_execz .LBB0_23
.LBB0_21:                               ; =>This Loop Header: Depth=1
                                        ;     Child Loop BB0_22 Depth 2
	s_cmp_eq_u32 s13, 0
	s_mov_b32 s14, s13
	s_cbranch_scc1 .LBB0_20
.LBB0_22:                               ;   Parent Loop BB0_21 Depth=1
                                        ; =>  This Inner Loop Header: Depth=2
	s_add_co_i32 s14, s14, -1
	s_sleep 1
	s_cmp_eq_u32 s14, 0
	s_cbranch_scc0 .LBB0_22
	s_branch .LBB0_20
.LBB0_23:
	s_or_b32 exec_lo, exec_lo, s12
.LBB0_24:
	s_delay_alu instid0(SALU_CYCLE_1)
	s_or_b32 exec_lo, exec_lo, s3
	v_max_i32_e32 v12, v5, v12
.LBB0_25:
	s_or_b32 exec_lo, exec_lo, s1
	s_delay_alu instid0(VALU_DEP_1)
	v_mov_b32_e32 v5, v12
.LBB0_26:
	s_or_b32 exec_lo, exec_lo, s0
.LBB0_27:
	s_delay_alu instid0(SALU_CYCLE_1) | instskip(SKIP_2) | instid1(VALU_DEP_1)
	s_or_b32 exec_lo, exec_lo, s2
	v_mbcnt_lo_u32_b32 v4, -1, 0
	s_wait_storecnt 0x0
	v_xor_b32_e32 v7, 16, v4
	v_or_b32_e32 v6, 32, v4
	s_delay_alu instid0(VALU_DEP_1) | instskip(SKIP_1) | instid1(VALU_DEP_4)
	v_cmp_gt_i32_e32 vcc_lo, 32, v6
	v_cndmask_b32_e32 v6, v4, v6, vcc_lo
	v_cmp_gt_i32_e32 vcc_lo, 32, v7
	v_cndmask_b32_e32 v7, v4, v7, vcc_lo
	s_delay_alu instid0(VALU_DEP_1)
	v_dual_lshlrev_b32 v7, 2, v7 :: v_dual_lshlrev_b32 v6, 2, v6
	ds_bpermute_b32 v6, v6, v5
	s_wait_dscnt 0x0
	v_max_i32_e32 v5, v5, v6
	ds_bpermute_b32 v6, v7, v5
	v_xor_b32_e32 v7, 8, v4
	s_delay_alu instid0(VALU_DEP_1) | instskip(SKIP_2) | instid1(VALU_DEP_1)
	v_cmp_gt_i32_e32 vcc_lo, 32, v7
	v_cndmask_b32_e32 v7, v4, v7, vcc_lo
	s_wait_dscnt 0x0
	v_dual_lshlrev_b32 v7, 2, v7 :: v_dual_max_i32 v5, v5, v6
	ds_bpermute_b32 v6, v7, v5
	v_xor_b32_e32 v7, 4, v4
	s_delay_alu instid0(VALU_DEP_1) | instskip(SKIP_2) | instid1(VALU_DEP_1)
	v_cmp_gt_i32_e32 vcc_lo, 32, v7
	s_wait_dscnt 0x0
	v_dual_cndmask_b32 v7, v4, v7, vcc_lo :: v_dual_max_i32 v5, v5, v6
	v_lshlrev_b32_e32 v7, 2, v7
	ds_bpermute_b32 v6, v7, v5
	v_xor_b32_e32 v7, 2, v4
	s_delay_alu instid0(VALU_DEP_1) | instskip(SKIP_2) | instid1(VALU_DEP_1)
	v_cmp_gt_i32_e32 vcc_lo, 32, v7
	s_wait_dscnt 0x0
	v_dual_cndmask_b32 v7, v4, v7, vcc_lo :: v_dual_max_i32 v5, v5, v6
	v_lshlrev_b32_e32 v7, 2, v7
	ds_bpermute_b32 v6, v7, v5
	v_xor_b32_e32 v7, 1, v4
	s_delay_alu instid0(VALU_DEP_1) | instskip(SKIP_3) | instid1(VALU_DEP_2)
	v_cmp_gt_i32_e32 vcc_lo, 32, v7
	v_cndmask_b32_e32 v7, v4, v7, vcc_lo
	v_cmp_eq_u32_e32 vcc_lo, 63, v9
	s_wait_dscnt 0x0
	v_dual_lshlrev_b32 v5, 2, v7 :: v_dual_max_i32 v4, v5, v6
	ds_bpermute_b32 v5, v5, v4
	s_and_b32 exec_lo, exec_lo, vcc_lo
	s_cbranch_execz .LBB0_37
; %bb.28:
	s_wait_dscnt 0x0
	v_max_i32_e32 v4, v4, v5
	s_mov_b32 s1, exec_lo
	s_brev_b32 s0, 1
	s_delay_alu instid0(VALU_DEP_1)
	v_add_nc_u32_e32 v6, 1, v4
	v_lshl_add_u64 v[4:5], v[2:3], 2, s[4:5]
	v_sub_nc_u32_e32 v3, v10, v11
	ds_store_b32 v8, v6
	global_store_b32 v[4:5], v6, off scope:SCOPE_DEV
.LBB0_29:                               ; =>This Inner Loop Header: Depth=1
	s_ctz_i32_b32 s2, s1
	s_delay_alu instid0(SALU_CYCLE_1) | instskip(SKIP_1) | instid1(SALU_CYCLE_1)
	v_readlane_b32 s3, v3, s2
	s_lshl_b32 s2, 1, s2
	s_and_not1_b32 s1, s1, s2
	s_max_i32 s0, s0, s3
	s_cmp_lg_u32 s1, 0
	s_cbranch_scc1 .LBB0_29
; %bb.30:
	v_mbcnt_lo_u32_b32 v3, exec_lo, 0
	s_mov_b32 s1, exec_lo
	s_wait_xcnt 0x0
	s_delay_alu instid0(VALU_DEP_1)
	v_cmpx_eq_u32_e32 0, v3
	s_xor_b32 s1, exec_lo, s1
	s_cbranch_execz .LBB0_32
; %bb.31:
	v_dual_mov_b32 v3, 0 :: v_dual_mov_b32 v4, s0
	global_atomic_max_i32 v3, v4, s[6:7] scope:SCOPE_DEV
.LBB0_32:
	s_wait_xcnt 0x0
	s_or_b32 exec_lo, exec_lo, s1
	global_load_b32 v0, v[0:1], off
	s_cmp_eq_u32 s11, 0
	s_cselect_b32 s0, -1, 0
	s_wait_loadcnt 0x0
	v_cmp_eq_u32_e32 vcc_lo, -1, v0
	s_and_b32 s0, s0, vcc_lo
	s_wait_xcnt 0x0
	s_and_b32 exec_lo, exec_lo, s0
	s_cbranch_execz .LBB0_37
; %bb.33:
	v_add_nc_u32_e32 v0, s10, v2
	s_mov_b32 s1, exec_lo
	s_brev_b32 s0, -2
.LBB0_34:                               ; =>This Inner Loop Header: Depth=1
	s_ctz_i32_b32 s2, s1
	s_delay_alu instid0(VALU_DEP_1) | instid1(SALU_CYCLE_1)
	v_readlane_b32 s3, v0, s2
	s_lshl_b32 s2, 1, s2
	s_delay_alu instid0(SALU_CYCLE_1)
	s_and_not1_b32 s1, s1, s2
	s_min_i32 s0, s0, s3
	s_cmp_lg_u32 s1, 0
	s_cbranch_scc1 .LBB0_34
; %bb.35:
	v_mbcnt_lo_u32_b32 v0, exec_lo, 0
	s_mov_b32 s1, exec_lo
	s_delay_alu instid0(VALU_DEP_1)
	v_cmpx_eq_u32_e32 0, v0
	s_xor_b32 s1, exec_lo, s1
	s_cbranch_execz .LBB0_37
; %bb.36:
	v_dual_mov_b32 v0, 0 :: v_dual_mov_b32 v1, s0
	global_atomic_min_i32 v0, v1, s[8:9] scope:SCOPE_DEV
.LBB0_37:
	s_endpgm
	.section	.rodata,"a",@progbits
	.p2align	6, 0x0
	.amdhsa_kernel _ZN9rocsparseL27csrsv_analysis_upper_kernelILj1024ELj64ELb1EiiEEvT3_PKT2_PKS1_PS2_PiS7_PS1_21rocsparse_index_base_20rocsparse_diag_type_
		.amdhsa_group_segment_fixed_size 64
		.amdhsa_private_segment_fixed_size 0
		.amdhsa_kernarg_size 64
		.amdhsa_user_sgpr_count 2
		.amdhsa_user_sgpr_dispatch_ptr 0
		.amdhsa_user_sgpr_queue_ptr 0
		.amdhsa_user_sgpr_kernarg_segment_ptr 1
		.amdhsa_user_sgpr_dispatch_id 0
		.amdhsa_user_sgpr_kernarg_preload_length 0
		.amdhsa_user_sgpr_kernarg_preload_offset 0
		.amdhsa_user_sgpr_private_segment_size 0
		.amdhsa_wavefront_size32 1
		.amdhsa_uses_dynamic_stack 0
		.amdhsa_enable_private_segment 0
		.amdhsa_system_sgpr_workgroup_id_x 1
		.amdhsa_system_sgpr_workgroup_id_y 0
		.amdhsa_system_sgpr_workgroup_id_z 0
		.amdhsa_system_sgpr_workgroup_info 0
		.amdhsa_system_vgpr_workitem_id 0
		.amdhsa_next_free_vgpr 14
		.amdhsa_next_free_sgpr 23
		.amdhsa_named_barrier_count 0
		.amdhsa_reserve_vcc 1
		.amdhsa_float_round_mode_32 0
		.amdhsa_float_round_mode_16_64 0
		.amdhsa_float_denorm_mode_32 3
		.amdhsa_float_denorm_mode_16_64 3
		.amdhsa_fp16_overflow 0
		.amdhsa_memory_ordered 1
		.amdhsa_forward_progress 1
		.amdhsa_inst_pref_size 12
		.amdhsa_round_robin_scheduling 0
		.amdhsa_exception_fp_ieee_invalid_op 0
		.amdhsa_exception_fp_denorm_src 0
		.amdhsa_exception_fp_ieee_div_zero 0
		.amdhsa_exception_fp_ieee_overflow 0
		.amdhsa_exception_fp_ieee_underflow 0
		.amdhsa_exception_fp_ieee_inexact 0
		.amdhsa_exception_int_div_zero 0
	.end_amdhsa_kernel
	.section	.text._ZN9rocsparseL27csrsv_analysis_upper_kernelILj1024ELj64ELb1EiiEEvT3_PKT2_PKS1_PS2_PiS7_PS1_21rocsparse_index_base_20rocsparse_diag_type_,"axG",@progbits,_ZN9rocsparseL27csrsv_analysis_upper_kernelILj1024ELj64ELb1EiiEEvT3_PKT2_PKS1_PS2_PiS7_PS1_21rocsparse_index_base_20rocsparse_diag_type_,comdat
.Lfunc_end0:
	.size	_ZN9rocsparseL27csrsv_analysis_upper_kernelILj1024ELj64ELb1EiiEEvT3_PKT2_PKS1_PS2_PiS7_PS1_21rocsparse_index_base_20rocsparse_diag_type_, .Lfunc_end0-_ZN9rocsparseL27csrsv_analysis_upper_kernelILj1024ELj64ELb1EiiEEvT3_PKT2_PKS1_PS2_PiS7_PS1_21rocsparse_index_base_20rocsparse_diag_type_
                                        ; -- End function
	.set _ZN9rocsparseL27csrsv_analysis_upper_kernelILj1024ELj64ELb1EiiEEvT3_PKT2_PKS1_PS2_PiS7_PS1_21rocsparse_index_base_20rocsparse_diag_type_.num_vgpr, 14
	.set _ZN9rocsparseL27csrsv_analysis_upper_kernelILj1024ELj64ELb1EiiEEvT3_PKT2_PKS1_PS2_PiS7_PS1_21rocsparse_index_base_20rocsparse_diag_type_.num_agpr, 0
	.set _ZN9rocsparseL27csrsv_analysis_upper_kernelILj1024ELj64ELb1EiiEEvT3_PKT2_PKS1_PS2_PiS7_PS1_21rocsparse_index_base_20rocsparse_diag_type_.numbered_sgpr, 23
	.set _ZN9rocsparseL27csrsv_analysis_upper_kernelILj1024ELj64ELb1EiiEEvT3_PKT2_PKS1_PS2_PiS7_PS1_21rocsparse_index_base_20rocsparse_diag_type_.num_named_barrier, 0
	.set _ZN9rocsparseL27csrsv_analysis_upper_kernelILj1024ELj64ELb1EiiEEvT3_PKT2_PKS1_PS2_PiS7_PS1_21rocsparse_index_base_20rocsparse_diag_type_.private_seg_size, 0
	.set _ZN9rocsparseL27csrsv_analysis_upper_kernelILj1024ELj64ELb1EiiEEvT3_PKT2_PKS1_PS2_PiS7_PS1_21rocsparse_index_base_20rocsparse_diag_type_.uses_vcc, 1
	.set _ZN9rocsparseL27csrsv_analysis_upper_kernelILj1024ELj64ELb1EiiEEvT3_PKT2_PKS1_PS2_PiS7_PS1_21rocsparse_index_base_20rocsparse_diag_type_.uses_flat_scratch, 0
	.set _ZN9rocsparseL27csrsv_analysis_upper_kernelILj1024ELj64ELb1EiiEEvT3_PKT2_PKS1_PS2_PiS7_PS1_21rocsparse_index_base_20rocsparse_diag_type_.has_dyn_sized_stack, 0
	.set _ZN9rocsparseL27csrsv_analysis_upper_kernelILj1024ELj64ELb1EiiEEvT3_PKT2_PKS1_PS2_PiS7_PS1_21rocsparse_index_base_20rocsparse_diag_type_.has_recursion, 0
	.set _ZN9rocsparseL27csrsv_analysis_upper_kernelILj1024ELj64ELb1EiiEEvT3_PKT2_PKS1_PS2_PiS7_PS1_21rocsparse_index_base_20rocsparse_diag_type_.has_indirect_call, 0
	.section	.AMDGPU.csdata,"",@progbits
; Kernel info:
; codeLenInByte = 1412
; TotalNumSgprs: 25
; NumVgprs: 14
; ScratchSize: 0
; MemoryBound: 0
; FloatMode: 240
; IeeeMode: 1
; LDSByteSize: 64 bytes/workgroup (compile time only)
; SGPRBlocks: 0
; VGPRBlocks: 0
; NumSGPRsForWavesPerEU: 25
; NumVGPRsForWavesPerEU: 14
; NamedBarCnt: 0
; Occupancy: 16
; WaveLimiterHint : 1
; COMPUTE_PGM_RSRC2:SCRATCH_EN: 0
; COMPUTE_PGM_RSRC2:USER_SGPR: 2
; COMPUTE_PGM_RSRC2:TRAP_HANDLER: 0
; COMPUTE_PGM_RSRC2:TGID_X_EN: 1
; COMPUTE_PGM_RSRC2:TGID_Y_EN: 0
; COMPUTE_PGM_RSRC2:TGID_Z_EN: 0
; COMPUTE_PGM_RSRC2:TIDIG_COMP_CNT: 0
	.section	.text._ZN9rocsparseL27csrsv_analysis_lower_kernelILj1024ELj64ELb1EiiEEvT3_PKT2_PKS1_PS2_PiS7_PS1_21rocsparse_index_base_20rocsparse_diag_type_,"axG",@progbits,_ZN9rocsparseL27csrsv_analysis_lower_kernelILj1024ELj64ELb1EiiEEvT3_PKT2_PKS1_PS2_PiS7_PS1_21rocsparse_index_base_20rocsparse_diag_type_,comdat
	.globl	_ZN9rocsparseL27csrsv_analysis_lower_kernelILj1024ELj64ELb1EiiEEvT3_PKT2_PKS1_PS2_PiS7_PS1_21rocsparse_index_base_20rocsparse_diag_type_ ; -- Begin function _ZN9rocsparseL27csrsv_analysis_lower_kernelILj1024ELj64ELb1EiiEEvT3_PKT2_PKS1_PS2_PiS7_PS1_21rocsparse_index_base_20rocsparse_diag_type_
	.p2align	8
	.type	_ZN9rocsparseL27csrsv_analysis_lower_kernelILj1024ELj64ELb1EiiEEvT3_PKT2_PKS1_PS2_PiS7_PS1_21rocsparse_index_base_20rocsparse_diag_type_,@function
_ZN9rocsparseL27csrsv_analysis_lower_kernelILj1024ELj64ELb1EiiEEvT3_PKT2_PKS1_PS2_PiS7_PS1_21rocsparse_index_base_20rocsparse_diag_type_: ; @_ZN9rocsparseL27csrsv_analysis_lower_kernelILj1024ELj64ELb1EiiEEvT3_PKT2_PKS1_PS2_PiS7_PS1_21rocsparse_index_base_20rocsparse_diag_type_
; %bb.0:
	s_load_b32 s2, s[0:1], 0x0
	s_bfe_u32 s3, ttmp6, 0x4000c
	s_and_b32 s4, ttmp6, 15
	s_add_co_i32 s3, s3, 1
	s_getreg_b32 s5, hwreg(HW_REG_IB_STS2, 6, 4)
	s_mul_i32 s3, ttmp9, s3
	v_dual_lshrrev_b32 v1, 6, v0 :: v_dual_mov_b32 v3, 0
	s_add_co_i32 s4, s4, s3
	s_cmp_eq_u32 s5, 0
	s_cselect_b32 s3, ttmp9, s4
	s_delay_alu instid0(SALU_CYCLE_1) | instskip(NEXT) | instid1(SALU_CYCLE_1)
	s_lshl_b32 s12, s3, 4
	v_dual_lshlrev_b32 v8, 2, v1 :: v_dual_bitop2_b32 v2, s12, v1 bitop3:0x54
	ds_store_b32 v8, v3
	s_wait_kmcnt 0x0
	v_cmp_gt_i32_e32 vcc_lo, s2, v2
	s_wait_dscnt 0x0
	s_barrier_signal -1
	s_barrier_wait -1
	s_and_saveexec_b32 s2, vcc_lo
	s_cbranch_execz .LBB1_37
; %bb.1:
	s_clause 0x1
	s_load_b64 s[4:5], s[0:1], 0x18
	s_load_b64 s[2:3], s[0:1], 0x8
	v_dual_ashrrev_i32 v3, 31, v2 :: v_dual_bitop2_b32 v9, 63, v0 bitop3:0x40
	s_wait_kmcnt 0x0
	s_delay_alu instid0(VALU_DEP_1) | instskip(SKIP_1) | instid1(VALU_DEP_2)
	v_lshl_add_u64 v[0:1], v[2:3], 2, s[4:5]
	s_mov_b32 s4, exec_lo
	v_cmpx_eq_u32_e32 0, v9
	s_cbranch_execz .LBB1_3
; %bb.2:
	v_mov_b32_e32 v4, -1
	global_store_b32 v[0:1], v4, off
.LBB1_3:
	s_wait_xcnt 0x0
	s_or_b32 exec_lo, exec_lo, s4
	v_lshl_add_u64 v[4:5], v[2:3], 2, s[2:3]
	s_load_b256 s[4:11], s[0:1], 0x20
	s_mov_b32 s2, exec_lo
	global_load_b64 v[4:5], v[4:5], off
	s_wait_loadcnt 0x0
	s_wait_kmcnt 0x0
	v_subrev_nc_u32_e32 v10, s10, v4
	v_subrev_nc_u32_e32 v11, s10, v5
	s_wait_xcnt 0x0
	s_delay_alu instid0(VALU_DEP_2) | instskip(NEXT) | instid1(VALU_DEP_1)
	v_dual_mov_b32 v5, 0 :: v_dual_add_nc_u32 v6, v10, v9
	v_cmpx_lt_i32_e64 v6, v11
	s_cbranch_execz .LBB1_27
; %bb.4:
	s_load_b64 s[0:1], s[0:1], 0x10
	v_mov_b32_e32 v5, 0
	s_mov_b32 s13, 0
                                        ; implicit-def: $sgpr3
                                        ; implicit-def: $sgpr15
                                        ; implicit-def: $sgpr14
	s_branch .LBB1_8
.LBB1_5:                                ;   in Loop: Header=BB1_8 Depth=1
	s_or_b32 exec_lo, exec_lo, s18
.LBB1_6:                                ;   in Loop: Header=BB1_8 Depth=1
	s_delay_alu instid0(SALU_CYCLE_1) | instskip(SKIP_3) | instid1(VALU_DEP_1)
	s_or_b32 exec_lo, exec_lo, s17
	v_dual_add_nc_u32 v6, 64, v13 :: v_dual_max_i32 v5, v5, v12
	s_and_not1_b32 s15, s15, exec_lo
	s_and_not1_b32 s14, s14, exec_lo
	v_cmp_ge_i32_e32 vcc_lo, v6, v11
	s_and_b32 s17, vcc_lo, exec_lo
	s_delay_alu instid0(SALU_CYCLE_1)
	s_or_b32 s15, s15, s17
.LBB1_7:                                ;   in Loop: Header=BB1_8 Depth=1
	s_or_b32 exec_lo, exec_lo, s16
	s_delay_alu instid0(SALU_CYCLE_1) | instskip(NEXT) | instid1(SALU_CYCLE_1)
	s_and_b32 s16, exec_lo, s15
	s_or_b32 s13, s16, s13
	s_and_not1_b32 s3, s3, exec_lo
	s_and_b32 s16, s14, exec_lo
	s_delay_alu instid0(SALU_CYCLE_1)
	s_or_b32 s3, s3, s16
	s_and_not1_b32 exec_lo, exec_lo, s13
	s_cbranch_execz .LBB1_14
.LBB1_8:                                ; =>This Loop Header: Depth=1
                                        ;     Child Loop BB1_12 Depth 2
                                        ;       Child Loop BB1_13 Depth 3
	s_wait_kmcnt 0x0
	global_load_b32 v4, v6, s[0:1] scale_offset th:TH_LOAD_NT
	v_dual_mov_b32 v13, v6 :: v_dual_mov_b32 v12, v5
	s_or_b32 s14, s14, exec_lo
	s_or_b32 s15, s15, exec_lo
	s_mov_b32 s16, exec_lo
                                        ; implicit-def: $vgpr6
                                        ; implicit-def: $vgpr5
	s_wait_loadcnt 0x0
	v_subrev_nc_u32_e32 v4, s10, v4
	s_wait_xcnt 0x0
	s_delay_alu instid0(VALU_DEP_1)
	v_cmpx_gt_i32_e64 s12, v4
	s_cbranch_execz .LBB1_7
; %bb.9:                                ;   in Loop: Header=BB1_8 Depth=1
	global_load_b32 v5, v4, s[4:5] scale_offset scope:SCOPE_DEV
	s_mov_b32 s17, exec_lo
	s_wait_loadcnt 0x0
	v_cmpx_eq_u32_e32 0, v5
	s_cbranch_execz .LBB1_6
; %bb.10:                               ;   in Loop: Header=BB1_8 Depth=1
	v_ashrrev_i32_e32 v5, 31, v4
	s_mov_b32 s18, 0
	s_mov_b32 s19, 0
	s_delay_alu instid0(VALU_DEP_1)
	v_lshl_add_u64 v[6:7], v[4:5], 2, s[4:5]
	s_branch .LBB1_12
.LBB1_11:                               ;   in Loop: Header=BB1_12 Depth=2
	global_load_b32 v5, v[6:7], off scope:SCOPE_DEV
	s_cmp_lt_u32 s19, 0xf43
	s_cselect_b32 s20, -1, 0
	s_delay_alu instid0(SALU_CYCLE_1)
	s_cmp_lg_u32 s20, 0
	s_add_co_ci_u32 s19, s19, 0
	s_wait_loadcnt 0x0
	v_cmp_ne_u32_e32 vcc_lo, 0, v5
	s_or_b32 s18, vcc_lo, s18
	s_wait_xcnt 0x0
	s_and_not1_b32 exec_lo, exec_lo, s18
	s_cbranch_execz .LBB1_5
.LBB1_12:                               ;   Parent Loop BB1_8 Depth=1
                                        ; =>  This Loop Header: Depth=2
                                        ;       Child Loop BB1_13 Depth 3
	s_cmp_eq_u32 s19, 0
	s_mov_b32 s20, s19
	s_cbranch_scc1 .LBB1_11
.LBB1_13:                               ;   Parent Loop BB1_8 Depth=1
                                        ;     Parent Loop BB1_12 Depth=2
                                        ; =>    This Inner Loop Header: Depth=3
	s_add_co_i32 s20, s20, -1
	s_sleep 1
	s_cmp_eq_u32 s20, 0
	s_cbranch_scc0 .LBB1_13
	s_branch .LBB1_11
.LBB1_14:
	s_or_b32 exec_lo, exec_lo, s13
	s_and_saveexec_b32 s0, s3
	s_delay_alu instid0(SALU_CYCLE_1)
	s_xor_b32 s0, exec_lo, s0
	s_cbranch_execz .LBB1_26
; %bb.15:
	s_mov_b32 s1, exec_lo
	v_cmpx_eq_u32_e64 v4, v2
	s_cbranch_execz .LBB1_17
; %bb.16:
	global_store_b32 v[0:1], v13, off
.LBB1_17:
	s_wait_xcnt 0x0
	s_or_b32 exec_lo, exec_lo, s1
	s_delay_alu instid0(SALU_CYCLE_1)
	s_mov_b32 s1, exec_lo
	v_cmpx_lt_i32_e64 v4, v2
	s_cbranch_execz .LBB1_25
; %bb.18:
	v_subrev_nc_u32_e32 v4, s12, v4
	s_mov_b32 s12, 0
	s_mov_b32 s3, exec_lo
	s_delay_alu instid0(VALU_DEP_1)
	v_lshlrev_b32_e32 v4, 2, v4
	ds_load_b32 v5, v4
	s_wait_dscnt 0x0
	v_cmpx_eq_u32_e32 0, v5
	s_cbranch_execz .LBB1_24
; %bb.19:
	s_mov_b32 s13, 0
	s_branch .LBB1_21
.LBB1_20:                               ;   in Loop: Header=BB1_21 Depth=1
	ds_load_b32 v5, v4
	s_cmp_lt_u32 s13, 0xf43
	s_cselect_b32 s14, -1, 0
	s_delay_alu instid0(SALU_CYCLE_1) | instskip(SKIP_4) | instid1(SALU_CYCLE_1)
	s_cmp_lg_u32 s14, 0
	s_add_co_ci_u32 s13, s13, 0
	s_wait_dscnt 0x0
	v_cmp_ne_u32_e32 vcc_lo, 0, v5
	s_or_b32 s12, vcc_lo, s12
	s_and_not1_b32 exec_lo, exec_lo, s12
	s_cbranch_execz .LBB1_23
.LBB1_21:                               ; =>This Loop Header: Depth=1
                                        ;     Child Loop BB1_22 Depth 2
	s_cmp_eq_u32 s13, 0
	s_mov_b32 s14, s13
	s_cbranch_scc1 .LBB1_20
.LBB1_22:                               ;   Parent Loop BB1_21 Depth=1
                                        ; =>  This Inner Loop Header: Depth=2
	s_add_co_i32 s14, s14, -1
	s_sleep 1
	s_cmp_eq_u32 s14, 0
	s_cbranch_scc0 .LBB1_22
	s_branch .LBB1_20
.LBB1_23:
	s_or_b32 exec_lo, exec_lo, s12
.LBB1_24:
	s_delay_alu instid0(SALU_CYCLE_1)
	s_or_b32 exec_lo, exec_lo, s3
	v_max_i32_e32 v12, v5, v12
.LBB1_25:
	s_or_b32 exec_lo, exec_lo, s1
	s_delay_alu instid0(VALU_DEP_1)
	v_mov_b32_e32 v5, v12
.LBB1_26:
	s_or_b32 exec_lo, exec_lo, s0
.LBB1_27:
	s_delay_alu instid0(SALU_CYCLE_1) | instskip(SKIP_2) | instid1(VALU_DEP_1)
	s_or_b32 exec_lo, exec_lo, s2
	v_mbcnt_lo_u32_b32 v4, -1, 0
	s_wait_storecnt 0x0
	v_xor_b32_e32 v7, 16, v4
	v_or_b32_e32 v6, 32, v4
	s_delay_alu instid0(VALU_DEP_1) | instskip(SKIP_1) | instid1(VALU_DEP_4)
	v_cmp_gt_i32_e32 vcc_lo, 32, v6
	v_cndmask_b32_e32 v6, v4, v6, vcc_lo
	v_cmp_gt_i32_e32 vcc_lo, 32, v7
	v_cndmask_b32_e32 v7, v4, v7, vcc_lo
	s_delay_alu instid0(VALU_DEP_1)
	v_dual_lshlrev_b32 v7, 2, v7 :: v_dual_lshlrev_b32 v6, 2, v6
	ds_bpermute_b32 v6, v6, v5
	s_wait_dscnt 0x0
	v_max_i32_e32 v5, v5, v6
	ds_bpermute_b32 v6, v7, v5
	v_xor_b32_e32 v7, 8, v4
	s_delay_alu instid0(VALU_DEP_1) | instskip(SKIP_2) | instid1(VALU_DEP_1)
	v_cmp_gt_i32_e32 vcc_lo, 32, v7
	v_cndmask_b32_e32 v7, v4, v7, vcc_lo
	s_wait_dscnt 0x0
	v_dual_lshlrev_b32 v7, 2, v7 :: v_dual_max_i32 v5, v5, v6
	ds_bpermute_b32 v6, v7, v5
	v_xor_b32_e32 v7, 4, v4
	s_delay_alu instid0(VALU_DEP_1) | instskip(SKIP_2) | instid1(VALU_DEP_1)
	v_cmp_gt_i32_e32 vcc_lo, 32, v7
	s_wait_dscnt 0x0
	v_dual_cndmask_b32 v7, v4, v7, vcc_lo :: v_dual_max_i32 v5, v5, v6
	v_lshlrev_b32_e32 v7, 2, v7
	ds_bpermute_b32 v6, v7, v5
	v_xor_b32_e32 v7, 2, v4
	s_delay_alu instid0(VALU_DEP_1) | instskip(SKIP_2) | instid1(VALU_DEP_1)
	v_cmp_gt_i32_e32 vcc_lo, 32, v7
	s_wait_dscnt 0x0
	v_dual_cndmask_b32 v7, v4, v7, vcc_lo :: v_dual_max_i32 v5, v5, v6
	v_lshlrev_b32_e32 v7, 2, v7
	ds_bpermute_b32 v6, v7, v5
	v_xor_b32_e32 v7, 1, v4
	s_delay_alu instid0(VALU_DEP_1) | instskip(SKIP_3) | instid1(VALU_DEP_2)
	v_cmp_gt_i32_e32 vcc_lo, 32, v7
	v_cndmask_b32_e32 v7, v4, v7, vcc_lo
	v_cmp_eq_u32_e32 vcc_lo, 63, v9
	s_wait_dscnt 0x0
	v_dual_lshlrev_b32 v5, 2, v7 :: v_dual_max_i32 v4, v5, v6
	ds_bpermute_b32 v5, v5, v4
	s_and_b32 exec_lo, exec_lo, vcc_lo
	s_cbranch_execz .LBB1_37
; %bb.28:
	s_wait_dscnt 0x0
	v_max_i32_e32 v4, v4, v5
	s_mov_b32 s1, exec_lo
	s_brev_b32 s0, 1
	s_delay_alu instid0(VALU_DEP_1)
	v_add_nc_u32_e32 v6, 1, v4
	v_lshl_add_u64 v[4:5], v[2:3], 2, s[4:5]
	v_sub_nc_u32_e32 v3, v11, v10
	ds_store_b32 v8, v6
	global_store_b32 v[4:5], v6, off scope:SCOPE_DEV
.LBB1_29:                               ; =>This Inner Loop Header: Depth=1
	s_ctz_i32_b32 s2, s1
	s_delay_alu instid0(SALU_CYCLE_1) | instskip(SKIP_1) | instid1(SALU_CYCLE_1)
	v_readlane_b32 s3, v3, s2
	s_lshl_b32 s2, 1, s2
	s_and_not1_b32 s1, s1, s2
	s_max_i32 s0, s0, s3
	s_cmp_lg_u32 s1, 0
	s_cbranch_scc1 .LBB1_29
; %bb.30:
	v_mbcnt_lo_u32_b32 v3, exec_lo, 0
	s_mov_b32 s1, exec_lo
	s_wait_xcnt 0x0
	s_delay_alu instid0(VALU_DEP_1)
	v_cmpx_eq_u32_e32 0, v3
	s_xor_b32 s1, exec_lo, s1
	s_cbranch_execz .LBB1_32
; %bb.31:
	v_dual_mov_b32 v3, 0 :: v_dual_mov_b32 v4, s0
	global_atomic_max_i32 v3, v4, s[6:7] scope:SCOPE_DEV
.LBB1_32:
	s_wait_xcnt 0x0
	s_or_b32 exec_lo, exec_lo, s1
	global_load_b32 v0, v[0:1], off
	s_cmp_eq_u32 s11, 0
	s_cselect_b32 s0, -1, 0
	s_wait_loadcnt 0x0
	v_cmp_eq_u32_e32 vcc_lo, -1, v0
	s_and_b32 s0, s0, vcc_lo
	s_wait_xcnt 0x0
	s_and_b32 exec_lo, exec_lo, s0
	s_cbranch_execz .LBB1_37
; %bb.33:
	v_add_nc_u32_e32 v0, s10, v2
	s_mov_b32 s1, exec_lo
	s_brev_b32 s0, -2
.LBB1_34:                               ; =>This Inner Loop Header: Depth=1
	s_ctz_i32_b32 s2, s1
	s_delay_alu instid0(VALU_DEP_1) | instid1(SALU_CYCLE_1)
	v_readlane_b32 s3, v0, s2
	s_lshl_b32 s2, 1, s2
	s_delay_alu instid0(SALU_CYCLE_1)
	s_and_not1_b32 s1, s1, s2
	s_min_i32 s0, s0, s3
	s_cmp_lg_u32 s1, 0
	s_cbranch_scc1 .LBB1_34
; %bb.35:
	v_mbcnt_lo_u32_b32 v0, exec_lo, 0
	s_mov_b32 s1, exec_lo
	s_delay_alu instid0(VALU_DEP_1)
	v_cmpx_eq_u32_e32 0, v0
	s_xor_b32 s1, exec_lo, s1
	s_cbranch_execz .LBB1_37
; %bb.36:
	v_dual_mov_b32 v0, 0 :: v_dual_mov_b32 v1, s0
	global_atomic_min_i32 v0, v1, s[8:9] scope:SCOPE_DEV
.LBB1_37:
	s_endpgm
	.section	.rodata,"a",@progbits
	.p2align	6, 0x0
	.amdhsa_kernel _ZN9rocsparseL27csrsv_analysis_lower_kernelILj1024ELj64ELb1EiiEEvT3_PKT2_PKS1_PS2_PiS7_PS1_21rocsparse_index_base_20rocsparse_diag_type_
		.amdhsa_group_segment_fixed_size 64
		.amdhsa_private_segment_fixed_size 0
		.amdhsa_kernarg_size 64
		.amdhsa_user_sgpr_count 2
		.amdhsa_user_sgpr_dispatch_ptr 0
		.amdhsa_user_sgpr_queue_ptr 0
		.amdhsa_user_sgpr_kernarg_segment_ptr 1
		.amdhsa_user_sgpr_dispatch_id 0
		.amdhsa_user_sgpr_kernarg_preload_length 0
		.amdhsa_user_sgpr_kernarg_preload_offset 0
		.amdhsa_user_sgpr_private_segment_size 0
		.amdhsa_wavefront_size32 1
		.amdhsa_uses_dynamic_stack 0
		.amdhsa_enable_private_segment 0
		.amdhsa_system_sgpr_workgroup_id_x 1
		.amdhsa_system_sgpr_workgroup_id_y 0
		.amdhsa_system_sgpr_workgroup_id_z 0
		.amdhsa_system_sgpr_workgroup_info 0
		.amdhsa_system_vgpr_workitem_id 0
		.amdhsa_next_free_vgpr 14
		.amdhsa_next_free_sgpr 21
		.amdhsa_named_barrier_count 0
		.amdhsa_reserve_vcc 1
		.amdhsa_float_round_mode_32 0
		.amdhsa_float_round_mode_16_64 0
		.amdhsa_float_denorm_mode_32 3
		.amdhsa_float_denorm_mode_16_64 3
		.amdhsa_fp16_overflow 0
		.amdhsa_memory_ordered 1
		.amdhsa_forward_progress 1
		.amdhsa_inst_pref_size 11
		.amdhsa_round_robin_scheduling 0
		.amdhsa_exception_fp_ieee_invalid_op 0
		.amdhsa_exception_fp_denorm_src 0
		.amdhsa_exception_fp_ieee_div_zero 0
		.amdhsa_exception_fp_ieee_overflow 0
		.amdhsa_exception_fp_ieee_underflow 0
		.amdhsa_exception_fp_ieee_inexact 0
		.amdhsa_exception_int_div_zero 0
	.end_amdhsa_kernel
	.section	.text._ZN9rocsparseL27csrsv_analysis_lower_kernelILj1024ELj64ELb1EiiEEvT3_PKT2_PKS1_PS2_PiS7_PS1_21rocsparse_index_base_20rocsparse_diag_type_,"axG",@progbits,_ZN9rocsparseL27csrsv_analysis_lower_kernelILj1024ELj64ELb1EiiEEvT3_PKT2_PKS1_PS2_PiS7_PS1_21rocsparse_index_base_20rocsparse_diag_type_,comdat
.Lfunc_end1:
	.size	_ZN9rocsparseL27csrsv_analysis_lower_kernelILj1024ELj64ELb1EiiEEvT3_PKT2_PKS1_PS2_PiS7_PS1_21rocsparse_index_base_20rocsparse_diag_type_, .Lfunc_end1-_ZN9rocsparseL27csrsv_analysis_lower_kernelILj1024ELj64ELb1EiiEEvT3_PKT2_PKS1_PS2_PiS7_PS1_21rocsparse_index_base_20rocsparse_diag_type_
                                        ; -- End function
	.set _ZN9rocsparseL27csrsv_analysis_lower_kernelILj1024ELj64ELb1EiiEEvT3_PKT2_PKS1_PS2_PiS7_PS1_21rocsparse_index_base_20rocsparse_diag_type_.num_vgpr, 14
	.set _ZN9rocsparseL27csrsv_analysis_lower_kernelILj1024ELj64ELb1EiiEEvT3_PKT2_PKS1_PS2_PiS7_PS1_21rocsparse_index_base_20rocsparse_diag_type_.num_agpr, 0
	.set _ZN9rocsparseL27csrsv_analysis_lower_kernelILj1024ELj64ELb1EiiEEvT3_PKT2_PKS1_PS2_PiS7_PS1_21rocsparse_index_base_20rocsparse_diag_type_.numbered_sgpr, 21
	.set _ZN9rocsparseL27csrsv_analysis_lower_kernelILj1024ELj64ELb1EiiEEvT3_PKT2_PKS1_PS2_PiS7_PS1_21rocsparse_index_base_20rocsparse_diag_type_.num_named_barrier, 0
	.set _ZN9rocsparseL27csrsv_analysis_lower_kernelILj1024ELj64ELb1EiiEEvT3_PKT2_PKS1_PS2_PiS7_PS1_21rocsparse_index_base_20rocsparse_diag_type_.private_seg_size, 0
	.set _ZN9rocsparseL27csrsv_analysis_lower_kernelILj1024ELj64ELb1EiiEEvT3_PKT2_PKS1_PS2_PiS7_PS1_21rocsparse_index_base_20rocsparse_diag_type_.uses_vcc, 1
	.set _ZN9rocsparseL27csrsv_analysis_lower_kernelILj1024ELj64ELb1EiiEEvT3_PKT2_PKS1_PS2_PiS7_PS1_21rocsparse_index_base_20rocsparse_diag_type_.uses_flat_scratch, 0
	.set _ZN9rocsparseL27csrsv_analysis_lower_kernelILj1024ELj64ELb1EiiEEvT3_PKT2_PKS1_PS2_PiS7_PS1_21rocsparse_index_base_20rocsparse_diag_type_.has_dyn_sized_stack, 0
	.set _ZN9rocsparseL27csrsv_analysis_lower_kernelILj1024ELj64ELb1EiiEEvT3_PKT2_PKS1_PS2_PiS7_PS1_21rocsparse_index_base_20rocsparse_diag_type_.has_recursion, 0
	.set _ZN9rocsparseL27csrsv_analysis_lower_kernelILj1024ELj64ELb1EiiEEvT3_PKT2_PKS1_PS2_PiS7_PS1_21rocsparse_index_base_20rocsparse_diag_type_.has_indirect_call, 0
	.section	.AMDGPU.csdata,"",@progbits
; Kernel info:
; codeLenInByte = 1392
; TotalNumSgprs: 23
; NumVgprs: 14
; ScratchSize: 0
; MemoryBound: 0
; FloatMode: 240
; IeeeMode: 1
; LDSByteSize: 64 bytes/workgroup (compile time only)
; SGPRBlocks: 0
; VGPRBlocks: 0
; NumSGPRsForWavesPerEU: 23
; NumVGPRsForWavesPerEU: 14
; NamedBarCnt: 0
; Occupancy: 16
; WaveLimiterHint : 1
; COMPUTE_PGM_RSRC2:SCRATCH_EN: 0
; COMPUTE_PGM_RSRC2:USER_SGPR: 2
; COMPUTE_PGM_RSRC2:TRAP_HANDLER: 0
; COMPUTE_PGM_RSRC2:TGID_X_EN: 1
; COMPUTE_PGM_RSRC2:TGID_Y_EN: 0
; COMPUTE_PGM_RSRC2:TGID_Z_EN: 0
; COMPUTE_PGM_RSRC2:TIDIG_COMP_CNT: 0
	.section	.text._ZN9rocsparseL27csrsv_analysis_upper_kernelILj1024ELj32ELb0EiiEEvT3_PKT2_PKS1_PS2_PiS7_PS1_21rocsparse_index_base_20rocsparse_diag_type_,"axG",@progbits,_ZN9rocsparseL27csrsv_analysis_upper_kernelILj1024ELj32ELb0EiiEEvT3_PKT2_PKS1_PS2_PiS7_PS1_21rocsparse_index_base_20rocsparse_diag_type_,comdat
	.globl	_ZN9rocsparseL27csrsv_analysis_upper_kernelILj1024ELj32ELb0EiiEEvT3_PKT2_PKS1_PS2_PiS7_PS1_21rocsparse_index_base_20rocsparse_diag_type_ ; -- Begin function _ZN9rocsparseL27csrsv_analysis_upper_kernelILj1024ELj32ELb0EiiEEvT3_PKT2_PKS1_PS2_PiS7_PS1_21rocsparse_index_base_20rocsparse_diag_type_
	.p2align	8
	.type	_ZN9rocsparseL27csrsv_analysis_upper_kernelILj1024ELj32ELb0EiiEEvT3_PKT2_PKS1_PS2_PiS7_PS1_21rocsparse_index_base_20rocsparse_diag_type_,@function
_ZN9rocsparseL27csrsv_analysis_upper_kernelILj1024ELj32ELb0EiiEEvT3_PKT2_PKS1_PS2_PiS7_PS1_21rocsparse_index_base_20rocsparse_diag_type_: ; @_ZN9rocsparseL27csrsv_analysis_upper_kernelILj1024ELj32ELb0EiiEEvT3_PKT2_PKS1_PS2_PiS7_PS1_21rocsparse_index_base_20rocsparse_diag_type_
; %bb.0:
	s_load_b32 s12, s[0:1], 0x0
	s_bfe_u32 s2, ttmp6, 0x4000c
	s_and_b32 s3, ttmp6, 15
	s_add_co_i32 s2, s2, 1
	s_getreg_b32 s4, hwreg(HW_REG_IB_STS2, 6, 4)
	s_mul_i32 s2, ttmp9, s2
	v_dual_lshrrev_b32 v1, 5, v0 :: v_dual_mov_b32 v5, 0
	s_add_co_i32 s3, s3, s2
	s_cmp_eq_u32 s4, 0
	s_cselect_b32 s2, ttmp9, s3
	s_delay_alu instid0(SALU_CYCLE_1) | instskip(NEXT) | instid1(SALU_CYCLE_1)
	s_lshl_b32 s13, s2, 5
	s_not_b32 s2, s13
	s_wait_kmcnt 0x0
	s_add_co_i32 s14, s12, s2
	s_delay_alu instid0(SALU_CYCLE_1)
	v_dual_lshlrev_b32 v8, 2, v1 :: v_dual_sub_nc_u32 v2, s14, v1
	s_mov_b32 s2, exec_lo
	ds_store_b32 v8, v5
	s_wait_dscnt 0x0
	s_barrier_signal -1
	s_barrier_wait -1
	v_cmpx_lt_i32_e32 -1, v2
	s_cbranch_execz .LBB2_32
; %bb.1:
	s_clause 0x1
	s_load_b64 s[4:5], s[0:1], 0x18
	s_load_b64 s[2:3], s[0:1], 0x8
	v_dual_mov_b32 v3, v5 :: v_dual_bitop2_b32 v9, 31, v0 bitop3:0x40
	s_wait_kmcnt 0x0
	s_delay_alu instid0(VALU_DEP_1) | instskip(SKIP_1) | instid1(VALU_DEP_2)
	v_lshl_add_u64 v[0:1], v[2:3], 2, s[4:5]
	s_mov_b32 s4, exec_lo
	v_cmpx_eq_u32_e32 0, v9
	s_cbranch_execz .LBB2_3
; %bb.2:
	v_mov_b32_e32 v4, -1
	global_store_b32 v[0:1], v4, off
.LBB2_3:
	s_wait_xcnt 0x0
	s_or_b32 exec_lo, exec_lo, s4
	v_lshl_add_u64 v[6:7], v[2:3], 2, s[2:3]
	s_load_b256 s[4:11], s[0:1], 0x20
	s_mov_b32 s2, exec_lo
	global_load_b64 v[6:7], v[6:7], off
	s_wait_loadcnt 0x0
	s_wait_kmcnt 0x0
	v_subrev_nc_u32_e32 v10, s10, v7
	v_subrev_nc_u32_e32 v11, s10, v6
	s_wait_xcnt 0x0
	s_delay_alu instid0(VALU_DEP_2) | instskip(NEXT) | instid1(VALU_DEP_1)
	v_xad_u32 v6, v9, -1, v10
	v_cmpx_ge_i32_e64 v6, v11
	s_cbranch_execz .LBB2_22
; %bb.4:
	s_load_b64 s[0:1], s[0:1], 0x10
	v_mov_b32_e32 v5, 0
	s_mov_b32 s15, 0
                                        ; implicit-def: $sgpr3
                                        ; implicit-def: $sgpr17
                                        ; implicit-def: $sgpr16
	s_branch .LBB2_7
.LBB2_5:                                ;   in Loop: Header=BB2_7 Depth=1
	s_or_b32 exec_lo, exec_lo, s19
	v_subrev_nc_u32_e32 v6, 32, v13
	v_max_i32_e32 v5, v5, v12
	s_and_not1_b32 s17, s17, exec_lo
	s_and_not1_b32 s16, s16, exec_lo
	s_delay_alu instid0(VALU_DEP_2) | instskip(SKIP_1) | instid1(SALU_CYCLE_1)
	v_cmp_lt_i32_e32 vcc_lo, v6, v11
	s_and_b32 s19, vcc_lo, exec_lo
	s_or_b32 s17, s17, s19
.LBB2_6:                                ;   in Loop: Header=BB2_7 Depth=1
	s_or_b32 exec_lo, exec_lo, s18
	s_delay_alu instid0(SALU_CYCLE_1) | instskip(NEXT) | instid1(SALU_CYCLE_1)
	s_and_b32 s18, exec_lo, s17
	s_or_b32 s15, s18, s15
	s_and_not1_b32 s3, s3, exec_lo
	s_and_b32 s18, s16, exec_lo
	s_delay_alu instid0(SALU_CYCLE_1)
	s_or_b32 s3, s3, s18
	s_and_not1_b32 exec_lo, exec_lo, s15
	s_cbranch_execz .LBB2_12
.LBB2_7:                                ; =>This Loop Header: Depth=1
                                        ;     Child Loop BB2_10 Depth 2
	s_wait_kmcnt 0x0
	global_load_b32 v4, v6, s[0:1] scale_offset th:TH_LOAD_NT
	v_dual_mov_b32 v13, v6 :: v_dual_mov_b32 v12, v5
	s_or_b32 s16, s16, exec_lo
	s_or_b32 s17, s17, exec_lo
	s_mov_b32 s18, exec_lo
                                        ; implicit-def: $vgpr6
                                        ; implicit-def: $vgpr5
	s_wait_loadcnt 0x0
	v_subrev_nc_u32_e32 v4, s10, v4
	s_wait_xcnt 0x0
	s_delay_alu instid0(VALU_DEP_1)
	v_cmpx_lt_i32_e64 s14, v4
	s_cbranch_execz .LBB2_6
; %bb.8:                                ;   in Loop: Header=BB2_7 Depth=1
	global_load_b32 v5, v4, s[4:5] scale_offset scope:SCOPE_DEV
	s_mov_b32 s19, exec_lo
	s_wait_loadcnt 0x0
	v_cmpx_eq_u32_e32 0, v5
	s_cbranch_execz .LBB2_5
; %bb.9:                                ;   in Loop: Header=BB2_7 Depth=1
	v_ashrrev_i32_e32 v5, 31, v4
	s_mov_b32 s20, 0
	s_delay_alu instid0(VALU_DEP_1)
	v_lshl_add_u64 v[6:7], v[4:5], 2, s[4:5]
.LBB2_10:                               ;   Parent Loop BB2_7 Depth=1
                                        ; =>  This Inner Loop Header: Depth=2
	global_load_b32 v5, v[6:7], off scope:SCOPE_DEV
	s_wait_loadcnt 0x0
	v_cmp_ne_u32_e32 vcc_lo, 0, v5
	s_or_b32 s20, vcc_lo, s20
	s_wait_xcnt 0x0
	s_and_not1_b32 exec_lo, exec_lo, s20
	s_cbranch_execnz .LBB2_10
; %bb.11:                               ;   in Loop: Header=BB2_7 Depth=1
	s_or_b32 exec_lo, exec_lo, s20
	s_branch .LBB2_5
.LBB2_12:
	s_or_b32 exec_lo, exec_lo, s15
	s_and_saveexec_b32 s0, s3
	s_delay_alu instid0(SALU_CYCLE_1)
	s_xor_b32 s0, exec_lo, s0
	s_cbranch_execz .LBB2_21
; %bb.13:
	s_mov_b32 s1, exec_lo
	v_cmpx_eq_u32_e64 v4, v2
	s_cbranch_execz .LBB2_15
; %bb.14:
	global_store_b32 v[0:1], v13, off
.LBB2_15:
	s_wait_xcnt 0x0
	s_or_b32 exec_lo, exec_lo, s1
	s_delay_alu instid0(SALU_CYCLE_1)
	s_mov_b32 s1, exec_lo
	v_cmpx_gt_i32_e64 v4, v2
	s_cbranch_execz .LBB2_20
; %bb.16:
	s_xor_b32 s3, s13, 0x3fffffe0
	s_delay_alu instid0(SALU_CYCLE_1) | instskip(SKIP_3) | instid1(VALU_DEP_1)
	s_add_co_i32 s12, s12, s3
	s_mov_b32 s3, exec_lo
	v_sub_nc_u32_e32 v4, s12, v4
	s_mov_b32 s12, 0
	v_lshlrev_b32_e32 v5, 2, v4
	ds_load_b32 v4, v5 offset:124
	s_wait_dscnt 0x0
	v_cmpx_eq_u32_e32 0, v4
	s_cbranch_execz .LBB2_19
.LBB2_17:                               ; =>This Inner Loop Header: Depth=1
	ds_load_b32 v4, v5 offset:124
	s_wait_dscnt 0x0
	v_cmp_ne_u32_e32 vcc_lo, 0, v4
	s_or_b32 s12, vcc_lo, s12
	s_delay_alu instid0(SALU_CYCLE_1)
	s_and_not1_b32 exec_lo, exec_lo, s12
	s_cbranch_execnz .LBB2_17
; %bb.18:
	s_or_b32 exec_lo, exec_lo, s12
.LBB2_19:
	s_delay_alu instid0(SALU_CYCLE_1)
	s_or_b32 exec_lo, exec_lo, s3
	v_max_i32_e32 v12, v4, v12
.LBB2_20:
	s_or_b32 exec_lo, exec_lo, s1
	s_delay_alu instid0(VALU_DEP_1)
	v_mov_b32_e32 v5, v12
.LBB2_21:
	s_or_b32 exec_lo, exec_lo, s0
.LBB2_22:
	s_delay_alu instid0(SALU_CYCLE_1) | instskip(SKIP_2) | instid1(VALU_DEP_1)
	s_or_b32 exec_lo, exec_lo, s2
	v_mbcnt_lo_u32_b32 v4, -1, 0
	s_wait_storecnt 0x0
	v_xor_b32_e32 v7, 8, v4
	v_xor_b32_e32 v6, 16, v4
	s_delay_alu instid0(VALU_DEP_1) | instskip(SKIP_1) | instid1(VALU_DEP_4)
	v_cmp_gt_i32_e32 vcc_lo, 32, v6
	v_cndmask_b32_e32 v6, v4, v6, vcc_lo
	v_cmp_gt_i32_e32 vcc_lo, 32, v7
	v_cndmask_b32_e32 v7, v4, v7, vcc_lo
	s_delay_alu instid0(VALU_DEP_1)
	v_dual_lshlrev_b32 v7, 2, v7 :: v_dual_lshlrev_b32 v6, 2, v6
	ds_bpermute_b32 v6, v6, v5
	s_wait_dscnt 0x0
	v_max_i32_e32 v5, v5, v6
	ds_bpermute_b32 v6, v7, v5
	v_xor_b32_e32 v7, 4, v4
	s_delay_alu instid0(VALU_DEP_1) | instskip(SKIP_2) | instid1(VALU_DEP_1)
	v_cmp_gt_i32_e32 vcc_lo, 32, v7
	v_cndmask_b32_e32 v7, v4, v7, vcc_lo
	s_wait_dscnt 0x0
	v_dual_lshlrev_b32 v7, 2, v7 :: v_dual_max_i32 v5, v5, v6
	ds_bpermute_b32 v6, v7, v5
	v_xor_b32_e32 v7, 2, v4
	s_delay_alu instid0(VALU_DEP_1) | instskip(SKIP_2) | instid1(VALU_DEP_1)
	v_cmp_gt_i32_e32 vcc_lo, 32, v7
	s_wait_dscnt 0x0
	v_dual_cndmask_b32 v7, v4, v7, vcc_lo :: v_dual_max_i32 v5, v5, v6
	v_lshlrev_b32_e32 v7, 2, v7
	ds_bpermute_b32 v6, v7, v5
	v_xor_b32_e32 v7, 1, v4
	s_delay_alu instid0(VALU_DEP_1) | instskip(SKIP_3) | instid1(VALU_DEP_2)
	v_cmp_gt_i32_e32 vcc_lo, 32, v7
	v_cndmask_b32_e32 v7, v4, v7, vcc_lo
	v_cmp_eq_u32_e32 vcc_lo, 31, v9
	s_wait_dscnt 0x0
	v_dual_lshlrev_b32 v5, 2, v7 :: v_dual_max_i32 v4, v5, v6
	ds_bpermute_b32 v5, v5, v4
	s_and_b32 exec_lo, exec_lo, vcc_lo
	s_cbranch_execz .LBB2_32
; %bb.23:
	s_wait_dscnt 0x0
	v_max_i32_e32 v4, v4, v5
	s_mov_b32 s1, exec_lo
	s_brev_b32 s0, 1
	s_delay_alu instid0(VALU_DEP_1)
	v_add_nc_u32_e32 v6, 1, v4
	v_lshl_add_u64 v[4:5], v[2:3], 2, s[4:5]
	v_sub_nc_u32_e32 v3, v10, v11
	ds_store_b32 v8, v6
	global_store_b32 v[4:5], v6, off scope:SCOPE_DEV
.LBB2_24:                               ; =>This Inner Loop Header: Depth=1
	s_ctz_i32_b32 s2, s1
	s_delay_alu instid0(SALU_CYCLE_1) | instskip(SKIP_1) | instid1(SALU_CYCLE_1)
	v_readlane_b32 s3, v3, s2
	s_lshl_b32 s2, 1, s2
	s_and_not1_b32 s1, s1, s2
	s_max_i32 s0, s0, s3
	s_cmp_lg_u32 s1, 0
	s_cbranch_scc1 .LBB2_24
; %bb.25:
	v_mbcnt_lo_u32_b32 v3, exec_lo, 0
	s_mov_b32 s1, exec_lo
	s_wait_xcnt 0x0
	s_delay_alu instid0(VALU_DEP_1)
	v_cmpx_eq_u32_e32 0, v3
	s_xor_b32 s1, exec_lo, s1
	s_cbranch_execz .LBB2_27
; %bb.26:
	v_dual_mov_b32 v3, 0 :: v_dual_mov_b32 v4, s0
	global_atomic_max_i32 v3, v4, s[6:7] scope:SCOPE_DEV
.LBB2_27:
	s_wait_xcnt 0x0
	s_or_b32 exec_lo, exec_lo, s1
	global_load_b32 v0, v[0:1], off
	s_cmp_eq_u32 s11, 0
	s_cselect_b32 s0, -1, 0
	s_wait_loadcnt 0x0
	v_cmp_eq_u32_e32 vcc_lo, -1, v0
	s_and_b32 s0, s0, vcc_lo
	s_wait_xcnt 0x0
	s_and_b32 exec_lo, exec_lo, s0
	s_cbranch_execz .LBB2_32
; %bb.28:
	v_add_nc_u32_e32 v0, s10, v2
	s_mov_b32 s1, exec_lo
	s_brev_b32 s0, -2
.LBB2_29:                               ; =>This Inner Loop Header: Depth=1
	s_ctz_i32_b32 s2, s1
	s_delay_alu instid0(VALU_DEP_1) | instid1(SALU_CYCLE_1)
	v_readlane_b32 s3, v0, s2
	s_lshl_b32 s2, 1, s2
	s_delay_alu instid0(SALU_CYCLE_1)
	s_and_not1_b32 s1, s1, s2
	s_min_i32 s0, s0, s3
	s_cmp_lg_u32 s1, 0
	s_cbranch_scc1 .LBB2_29
; %bb.30:
	v_mbcnt_lo_u32_b32 v0, exec_lo, 0
	s_mov_b32 s1, exec_lo
	s_delay_alu instid0(VALU_DEP_1)
	v_cmpx_eq_u32_e32 0, v0
	s_xor_b32 s1, exec_lo, s1
	s_cbranch_execz .LBB2_32
; %bb.31:
	v_dual_mov_b32 v0, 0 :: v_dual_mov_b32 v1, s0
	global_atomic_min_i32 v0, v1, s[8:9] scope:SCOPE_DEV
.LBB2_32:
	s_endpgm
	.section	.rodata,"a",@progbits
	.p2align	6, 0x0
	.amdhsa_kernel _ZN9rocsparseL27csrsv_analysis_upper_kernelILj1024ELj32ELb0EiiEEvT3_PKT2_PKS1_PS2_PiS7_PS1_21rocsparse_index_base_20rocsparse_diag_type_
		.amdhsa_group_segment_fixed_size 128
		.amdhsa_private_segment_fixed_size 0
		.amdhsa_kernarg_size 64
		.amdhsa_user_sgpr_count 2
		.amdhsa_user_sgpr_dispatch_ptr 0
		.amdhsa_user_sgpr_queue_ptr 0
		.amdhsa_user_sgpr_kernarg_segment_ptr 1
		.amdhsa_user_sgpr_dispatch_id 0
		.amdhsa_user_sgpr_kernarg_preload_length 0
		.amdhsa_user_sgpr_kernarg_preload_offset 0
		.amdhsa_user_sgpr_private_segment_size 0
		.amdhsa_wavefront_size32 1
		.amdhsa_uses_dynamic_stack 0
		.amdhsa_enable_private_segment 0
		.amdhsa_system_sgpr_workgroup_id_x 1
		.amdhsa_system_sgpr_workgroup_id_y 0
		.amdhsa_system_sgpr_workgroup_id_z 0
		.amdhsa_system_sgpr_workgroup_info 0
		.amdhsa_system_vgpr_workitem_id 0
		.amdhsa_next_free_vgpr 14
		.amdhsa_next_free_sgpr 21
		.amdhsa_named_barrier_count 0
		.amdhsa_reserve_vcc 1
		.amdhsa_float_round_mode_32 0
		.amdhsa_float_round_mode_16_64 0
		.amdhsa_float_denorm_mode_32 3
		.amdhsa_float_denorm_mode_16_64 3
		.amdhsa_fp16_overflow 0
		.amdhsa_memory_ordered 1
		.amdhsa_forward_progress 1
		.amdhsa_inst_pref_size 10
		.amdhsa_round_robin_scheduling 0
		.amdhsa_exception_fp_ieee_invalid_op 0
		.amdhsa_exception_fp_denorm_src 0
		.amdhsa_exception_fp_ieee_div_zero 0
		.amdhsa_exception_fp_ieee_overflow 0
		.amdhsa_exception_fp_ieee_underflow 0
		.amdhsa_exception_fp_ieee_inexact 0
		.amdhsa_exception_int_div_zero 0
	.end_amdhsa_kernel
	.section	.text._ZN9rocsparseL27csrsv_analysis_upper_kernelILj1024ELj32ELb0EiiEEvT3_PKT2_PKS1_PS2_PiS7_PS1_21rocsparse_index_base_20rocsparse_diag_type_,"axG",@progbits,_ZN9rocsparseL27csrsv_analysis_upper_kernelILj1024ELj32ELb0EiiEEvT3_PKT2_PKS1_PS2_PiS7_PS1_21rocsparse_index_base_20rocsparse_diag_type_,comdat
.Lfunc_end2:
	.size	_ZN9rocsparseL27csrsv_analysis_upper_kernelILj1024ELj32ELb0EiiEEvT3_PKT2_PKS1_PS2_PiS7_PS1_21rocsparse_index_base_20rocsparse_diag_type_, .Lfunc_end2-_ZN9rocsparseL27csrsv_analysis_upper_kernelILj1024ELj32ELb0EiiEEvT3_PKT2_PKS1_PS2_PiS7_PS1_21rocsparse_index_base_20rocsparse_diag_type_
                                        ; -- End function
	.set _ZN9rocsparseL27csrsv_analysis_upper_kernelILj1024ELj32ELb0EiiEEvT3_PKT2_PKS1_PS2_PiS7_PS1_21rocsparse_index_base_20rocsparse_diag_type_.num_vgpr, 14
	.set _ZN9rocsparseL27csrsv_analysis_upper_kernelILj1024ELj32ELb0EiiEEvT3_PKT2_PKS1_PS2_PiS7_PS1_21rocsparse_index_base_20rocsparse_diag_type_.num_agpr, 0
	.set _ZN9rocsparseL27csrsv_analysis_upper_kernelILj1024ELj32ELb0EiiEEvT3_PKT2_PKS1_PS2_PiS7_PS1_21rocsparse_index_base_20rocsparse_diag_type_.numbered_sgpr, 21
	.set _ZN9rocsparseL27csrsv_analysis_upper_kernelILj1024ELj32ELb0EiiEEvT3_PKT2_PKS1_PS2_PiS7_PS1_21rocsparse_index_base_20rocsparse_diag_type_.num_named_barrier, 0
	.set _ZN9rocsparseL27csrsv_analysis_upper_kernelILj1024ELj32ELb0EiiEEvT3_PKT2_PKS1_PS2_PiS7_PS1_21rocsparse_index_base_20rocsparse_diag_type_.private_seg_size, 0
	.set _ZN9rocsparseL27csrsv_analysis_upper_kernelILj1024ELj32ELb0EiiEEvT3_PKT2_PKS1_PS2_PiS7_PS1_21rocsparse_index_base_20rocsparse_diag_type_.uses_vcc, 1
	.set _ZN9rocsparseL27csrsv_analysis_upper_kernelILj1024ELj32ELb0EiiEEvT3_PKT2_PKS1_PS2_PiS7_PS1_21rocsparse_index_base_20rocsparse_diag_type_.uses_flat_scratch, 0
	.set _ZN9rocsparseL27csrsv_analysis_upper_kernelILj1024ELj32ELb0EiiEEvT3_PKT2_PKS1_PS2_PiS7_PS1_21rocsparse_index_base_20rocsparse_diag_type_.has_dyn_sized_stack, 0
	.set _ZN9rocsparseL27csrsv_analysis_upper_kernelILj1024ELj32ELb0EiiEEvT3_PKT2_PKS1_PS2_PiS7_PS1_21rocsparse_index_base_20rocsparse_diag_type_.has_recursion, 0
	.set _ZN9rocsparseL27csrsv_analysis_upper_kernelILj1024ELj32ELb0EiiEEvT3_PKT2_PKS1_PS2_PiS7_PS1_21rocsparse_index_base_20rocsparse_diag_type_.has_indirect_call, 0
	.section	.AMDGPU.csdata,"",@progbits
; Kernel info:
; codeLenInByte = 1248
; TotalNumSgprs: 23
; NumVgprs: 14
; ScratchSize: 0
; MemoryBound: 0
; FloatMode: 240
; IeeeMode: 1
; LDSByteSize: 128 bytes/workgroup (compile time only)
; SGPRBlocks: 0
; VGPRBlocks: 0
; NumSGPRsForWavesPerEU: 23
; NumVGPRsForWavesPerEU: 14
; NamedBarCnt: 0
; Occupancy: 16
; WaveLimiterHint : 1
; COMPUTE_PGM_RSRC2:SCRATCH_EN: 0
; COMPUTE_PGM_RSRC2:USER_SGPR: 2
; COMPUTE_PGM_RSRC2:TRAP_HANDLER: 0
; COMPUTE_PGM_RSRC2:TGID_X_EN: 1
; COMPUTE_PGM_RSRC2:TGID_Y_EN: 0
; COMPUTE_PGM_RSRC2:TGID_Z_EN: 0
; COMPUTE_PGM_RSRC2:TIDIG_COMP_CNT: 0
	.section	.text._ZN9rocsparseL27csrsv_analysis_lower_kernelILj1024ELj32ELb0EiiEEvT3_PKT2_PKS1_PS2_PiS7_PS1_21rocsparse_index_base_20rocsparse_diag_type_,"axG",@progbits,_ZN9rocsparseL27csrsv_analysis_lower_kernelILj1024ELj32ELb0EiiEEvT3_PKT2_PKS1_PS2_PiS7_PS1_21rocsparse_index_base_20rocsparse_diag_type_,comdat
	.globl	_ZN9rocsparseL27csrsv_analysis_lower_kernelILj1024ELj32ELb0EiiEEvT3_PKT2_PKS1_PS2_PiS7_PS1_21rocsparse_index_base_20rocsparse_diag_type_ ; -- Begin function _ZN9rocsparseL27csrsv_analysis_lower_kernelILj1024ELj32ELb0EiiEEvT3_PKT2_PKS1_PS2_PiS7_PS1_21rocsparse_index_base_20rocsparse_diag_type_
	.p2align	8
	.type	_ZN9rocsparseL27csrsv_analysis_lower_kernelILj1024ELj32ELb0EiiEEvT3_PKT2_PKS1_PS2_PiS7_PS1_21rocsparse_index_base_20rocsparse_diag_type_,@function
_ZN9rocsparseL27csrsv_analysis_lower_kernelILj1024ELj32ELb0EiiEEvT3_PKT2_PKS1_PS2_PiS7_PS1_21rocsparse_index_base_20rocsparse_diag_type_: ; @_ZN9rocsparseL27csrsv_analysis_lower_kernelILj1024ELj32ELb0EiiEEvT3_PKT2_PKS1_PS2_PiS7_PS1_21rocsparse_index_base_20rocsparse_diag_type_
; %bb.0:
	s_load_b32 s2, s[0:1], 0x0
	s_bfe_u32 s3, ttmp6, 0x4000c
	s_and_b32 s4, ttmp6, 15
	s_add_co_i32 s3, s3, 1
	s_getreg_b32 s5, hwreg(HW_REG_IB_STS2, 6, 4)
	s_mul_i32 s3, ttmp9, s3
	v_dual_lshrrev_b32 v1, 5, v0 :: v_dual_mov_b32 v3, 0
	s_add_co_i32 s4, s4, s3
	s_cmp_eq_u32 s5, 0
	s_cselect_b32 s3, ttmp9, s4
	s_delay_alu instid0(SALU_CYCLE_1) | instskip(NEXT) | instid1(SALU_CYCLE_1)
	s_lshl_b32 s12, s3, 5
	v_dual_lshlrev_b32 v8, 2, v1 :: v_dual_bitop2_b32 v2, s12, v1 bitop3:0x54
	ds_store_b32 v8, v3
	s_wait_kmcnt 0x0
	v_cmp_gt_i32_e32 vcc_lo, s2, v2
	s_wait_dscnt 0x0
	s_barrier_signal -1
	s_barrier_wait -1
	s_and_saveexec_b32 s2, vcc_lo
	s_cbranch_execz .LBB3_32
; %bb.1:
	s_clause 0x1
	s_load_b64 s[4:5], s[0:1], 0x18
	s_load_b64 s[2:3], s[0:1], 0x8
	v_dual_ashrrev_i32 v3, 31, v2 :: v_dual_bitop2_b32 v9, 31, v0 bitop3:0x40
	s_wait_kmcnt 0x0
	s_delay_alu instid0(VALU_DEP_1) | instskip(SKIP_1) | instid1(VALU_DEP_2)
	v_lshl_add_u64 v[0:1], v[2:3], 2, s[4:5]
	s_mov_b32 s4, exec_lo
	v_cmpx_eq_u32_e32 0, v9
	s_cbranch_execz .LBB3_3
; %bb.2:
	v_mov_b32_e32 v4, -1
	global_store_b32 v[0:1], v4, off
.LBB3_3:
	s_wait_xcnt 0x0
	s_or_b32 exec_lo, exec_lo, s4
	v_lshl_add_u64 v[4:5], v[2:3], 2, s[2:3]
	s_load_b256 s[4:11], s[0:1], 0x20
	s_mov_b32 s2, exec_lo
	global_load_b64 v[4:5], v[4:5], off
	s_wait_loadcnt 0x0
	s_wait_kmcnt 0x0
	v_subrev_nc_u32_e32 v10, s10, v4
	v_subrev_nc_u32_e32 v11, s10, v5
	s_wait_xcnt 0x0
	s_delay_alu instid0(VALU_DEP_2) | instskip(NEXT) | instid1(VALU_DEP_1)
	v_dual_mov_b32 v5, 0 :: v_dual_add_nc_u32 v6, v10, v9
	v_cmpx_lt_i32_e64 v6, v11
	s_cbranch_execz .LBB3_22
; %bb.4:
	s_load_b64 s[0:1], s[0:1], 0x10
	v_mov_b32_e32 v5, 0
	s_mov_b32 s13, 0
                                        ; implicit-def: $sgpr3
                                        ; implicit-def: $sgpr15
                                        ; implicit-def: $sgpr14
	s_branch .LBB3_7
.LBB3_5:                                ;   in Loop: Header=BB3_7 Depth=1
	s_or_b32 exec_lo, exec_lo, s17
	v_dual_add_nc_u32 v6, 32, v13 :: v_dual_max_i32 v5, v5, v12
	s_and_not1_b32 s15, s15, exec_lo
	s_and_not1_b32 s14, s14, exec_lo
	s_delay_alu instid0(VALU_DEP_1) | instskip(SKIP_1) | instid1(SALU_CYCLE_1)
	v_cmp_ge_i32_e32 vcc_lo, v6, v11
	s_and_b32 s17, vcc_lo, exec_lo
	s_or_b32 s15, s15, s17
.LBB3_6:                                ;   in Loop: Header=BB3_7 Depth=1
	s_or_b32 exec_lo, exec_lo, s16
	s_delay_alu instid0(SALU_CYCLE_1) | instskip(NEXT) | instid1(SALU_CYCLE_1)
	s_and_b32 s16, exec_lo, s15
	s_or_b32 s13, s16, s13
	s_and_not1_b32 s3, s3, exec_lo
	s_and_b32 s16, s14, exec_lo
	s_delay_alu instid0(SALU_CYCLE_1)
	s_or_b32 s3, s3, s16
	s_and_not1_b32 exec_lo, exec_lo, s13
	s_cbranch_execz .LBB3_12
.LBB3_7:                                ; =>This Loop Header: Depth=1
                                        ;     Child Loop BB3_10 Depth 2
	s_wait_kmcnt 0x0
	global_load_b32 v4, v6, s[0:1] scale_offset th:TH_LOAD_NT
	v_dual_mov_b32 v13, v6 :: v_dual_mov_b32 v12, v5
	s_or_b32 s14, s14, exec_lo
	s_or_b32 s15, s15, exec_lo
	s_mov_b32 s16, exec_lo
                                        ; implicit-def: $vgpr6
                                        ; implicit-def: $vgpr5
	s_wait_loadcnt 0x0
	v_subrev_nc_u32_e32 v4, s10, v4
	s_wait_xcnt 0x0
	s_delay_alu instid0(VALU_DEP_1)
	v_cmpx_gt_i32_e64 s12, v4
	s_cbranch_execz .LBB3_6
; %bb.8:                                ;   in Loop: Header=BB3_7 Depth=1
	global_load_b32 v5, v4, s[4:5] scale_offset scope:SCOPE_DEV
	s_mov_b32 s17, exec_lo
	s_wait_loadcnt 0x0
	v_cmpx_eq_u32_e32 0, v5
	s_cbranch_execz .LBB3_5
; %bb.9:                                ;   in Loop: Header=BB3_7 Depth=1
	v_ashrrev_i32_e32 v5, 31, v4
	s_mov_b32 s18, 0
	s_delay_alu instid0(VALU_DEP_1)
	v_lshl_add_u64 v[6:7], v[4:5], 2, s[4:5]
.LBB3_10:                               ;   Parent Loop BB3_7 Depth=1
                                        ; =>  This Inner Loop Header: Depth=2
	global_load_b32 v5, v[6:7], off scope:SCOPE_DEV
	s_wait_loadcnt 0x0
	v_cmp_ne_u32_e32 vcc_lo, 0, v5
	s_or_b32 s18, vcc_lo, s18
	s_wait_xcnt 0x0
	s_and_not1_b32 exec_lo, exec_lo, s18
	s_cbranch_execnz .LBB3_10
; %bb.11:                               ;   in Loop: Header=BB3_7 Depth=1
	s_or_b32 exec_lo, exec_lo, s18
	s_branch .LBB3_5
.LBB3_12:
	s_or_b32 exec_lo, exec_lo, s13
	s_and_saveexec_b32 s0, s3
	s_delay_alu instid0(SALU_CYCLE_1)
	s_xor_b32 s0, exec_lo, s0
	s_cbranch_execz .LBB3_21
; %bb.13:
	s_mov_b32 s1, exec_lo
	v_cmpx_eq_u32_e64 v4, v2
	s_cbranch_execz .LBB3_15
; %bb.14:
	global_store_b32 v[0:1], v13, off
.LBB3_15:
	s_wait_xcnt 0x0
	s_or_b32 exec_lo, exec_lo, s1
	s_delay_alu instid0(SALU_CYCLE_1)
	s_mov_b32 s1, exec_lo
	v_cmpx_lt_i32_e64 v4, v2
	s_cbranch_execz .LBB3_20
; %bb.16:
	v_subrev_nc_u32_e32 v4, s12, v4
	s_mov_b32 s12, 0
	s_mov_b32 s3, exec_lo
	s_delay_alu instid0(VALU_DEP_1)
	v_lshlrev_b32_e32 v5, 2, v4
	ds_load_b32 v4, v5
	s_wait_dscnt 0x0
	v_cmpx_eq_u32_e32 0, v4
	s_cbranch_execz .LBB3_19
.LBB3_17:                               ; =>This Inner Loop Header: Depth=1
	ds_load_b32 v4, v5
	s_wait_dscnt 0x0
	v_cmp_ne_u32_e32 vcc_lo, 0, v4
	s_or_b32 s12, vcc_lo, s12
	s_delay_alu instid0(SALU_CYCLE_1)
	s_and_not1_b32 exec_lo, exec_lo, s12
	s_cbranch_execnz .LBB3_17
; %bb.18:
	s_or_b32 exec_lo, exec_lo, s12
.LBB3_19:
	s_delay_alu instid0(SALU_CYCLE_1)
	s_or_b32 exec_lo, exec_lo, s3
	v_max_i32_e32 v12, v4, v12
.LBB3_20:
	s_or_b32 exec_lo, exec_lo, s1
	s_delay_alu instid0(VALU_DEP_1)
	v_mov_b32_e32 v5, v12
.LBB3_21:
	s_or_b32 exec_lo, exec_lo, s0
.LBB3_22:
	s_delay_alu instid0(SALU_CYCLE_1) | instskip(SKIP_2) | instid1(VALU_DEP_1)
	s_or_b32 exec_lo, exec_lo, s2
	v_mbcnt_lo_u32_b32 v4, -1, 0
	s_wait_storecnt 0x0
	v_xor_b32_e32 v7, 8, v4
	v_xor_b32_e32 v6, 16, v4
	s_delay_alu instid0(VALU_DEP_1) | instskip(SKIP_1) | instid1(VALU_DEP_4)
	v_cmp_gt_i32_e32 vcc_lo, 32, v6
	v_cndmask_b32_e32 v6, v4, v6, vcc_lo
	v_cmp_gt_i32_e32 vcc_lo, 32, v7
	v_cndmask_b32_e32 v7, v4, v7, vcc_lo
	s_delay_alu instid0(VALU_DEP_1)
	v_dual_lshlrev_b32 v7, 2, v7 :: v_dual_lshlrev_b32 v6, 2, v6
	ds_bpermute_b32 v6, v6, v5
	s_wait_dscnt 0x0
	v_max_i32_e32 v5, v5, v6
	ds_bpermute_b32 v6, v7, v5
	v_xor_b32_e32 v7, 4, v4
	s_delay_alu instid0(VALU_DEP_1) | instskip(SKIP_2) | instid1(VALU_DEP_1)
	v_cmp_gt_i32_e32 vcc_lo, 32, v7
	v_cndmask_b32_e32 v7, v4, v7, vcc_lo
	s_wait_dscnt 0x0
	v_dual_lshlrev_b32 v7, 2, v7 :: v_dual_max_i32 v5, v5, v6
	ds_bpermute_b32 v6, v7, v5
	v_xor_b32_e32 v7, 2, v4
	s_delay_alu instid0(VALU_DEP_1) | instskip(SKIP_2) | instid1(VALU_DEP_1)
	v_cmp_gt_i32_e32 vcc_lo, 32, v7
	s_wait_dscnt 0x0
	v_dual_cndmask_b32 v7, v4, v7, vcc_lo :: v_dual_max_i32 v5, v5, v6
	v_lshlrev_b32_e32 v7, 2, v7
	ds_bpermute_b32 v6, v7, v5
	v_xor_b32_e32 v7, 1, v4
	s_delay_alu instid0(VALU_DEP_1) | instskip(SKIP_3) | instid1(VALU_DEP_2)
	v_cmp_gt_i32_e32 vcc_lo, 32, v7
	v_cndmask_b32_e32 v7, v4, v7, vcc_lo
	v_cmp_eq_u32_e32 vcc_lo, 31, v9
	s_wait_dscnt 0x0
	v_dual_lshlrev_b32 v5, 2, v7 :: v_dual_max_i32 v4, v5, v6
	ds_bpermute_b32 v5, v5, v4
	s_and_b32 exec_lo, exec_lo, vcc_lo
	s_cbranch_execz .LBB3_32
; %bb.23:
	s_wait_dscnt 0x0
	v_max_i32_e32 v4, v4, v5
	s_mov_b32 s1, exec_lo
	s_brev_b32 s0, 1
	s_delay_alu instid0(VALU_DEP_1)
	v_add_nc_u32_e32 v6, 1, v4
	v_lshl_add_u64 v[4:5], v[2:3], 2, s[4:5]
	v_sub_nc_u32_e32 v3, v11, v10
	ds_store_b32 v8, v6
	global_store_b32 v[4:5], v6, off scope:SCOPE_DEV
.LBB3_24:                               ; =>This Inner Loop Header: Depth=1
	s_ctz_i32_b32 s2, s1
	s_delay_alu instid0(SALU_CYCLE_1) | instskip(SKIP_1) | instid1(SALU_CYCLE_1)
	v_readlane_b32 s3, v3, s2
	s_lshl_b32 s2, 1, s2
	s_and_not1_b32 s1, s1, s2
	s_max_i32 s0, s0, s3
	s_cmp_lg_u32 s1, 0
	s_cbranch_scc1 .LBB3_24
; %bb.25:
	v_mbcnt_lo_u32_b32 v3, exec_lo, 0
	s_mov_b32 s1, exec_lo
	s_wait_xcnt 0x0
	s_delay_alu instid0(VALU_DEP_1)
	v_cmpx_eq_u32_e32 0, v3
	s_xor_b32 s1, exec_lo, s1
	s_cbranch_execz .LBB3_27
; %bb.26:
	v_dual_mov_b32 v3, 0 :: v_dual_mov_b32 v4, s0
	global_atomic_max_i32 v3, v4, s[6:7] scope:SCOPE_DEV
.LBB3_27:
	s_wait_xcnt 0x0
	s_or_b32 exec_lo, exec_lo, s1
	global_load_b32 v0, v[0:1], off
	s_cmp_eq_u32 s11, 0
	s_cselect_b32 s0, -1, 0
	s_wait_loadcnt 0x0
	v_cmp_eq_u32_e32 vcc_lo, -1, v0
	s_and_b32 s0, s0, vcc_lo
	s_wait_xcnt 0x0
	s_and_b32 exec_lo, exec_lo, s0
	s_cbranch_execz .LBB3_32
; %bb.28:
	v_add_nc_u32_e32 v0, s10, v2
	s_mov_b32 s1, exec_lo
	s_brev_b32 s0, -2
.LBB3_29:                               ; =>This Inner Loop Header: Depth=1
	s_ctz_i32_b32 s2, s1
	s_delay_alu instid0(VALU_DEP_1) | instid1(SALU_CYCLE_1)
	v_readlane_b32 s3, v0, s2
	s_lshl_b32 s2, 1, s2
	s_delay_alu instid0(SALU_CYCLE_1)
	s_and_not1_b32 s1, s1, s2
	s_min_i32 s0, s0, s3
	s_cmp_lg_u32 s1, 0
	s_cbranch_scc1 .LBB3_29
; %bb.30:
	v_mbcnt_lo_u32_b32 v0, exec_lo, 0
	s_mov_b32 s1, exec_lo
	s_delay_alu instid0(VALU_DEP_1)
	v_cmpx_eq_u32_e32 0, v0
	s_xor_b32 s1, exec_lo, s1
	s_cbranch_execz .LBB3_32
; %bb.31:
	v_dual_mov_b32 v0, 0 :: v_dual_mov_b32 v1, s0
	global_atomic_min_i32 v0, v1, s[8:9] scope:SCOPE_DEV
.LBB3_32:
	s_endpgm
	.section	.rodata,"a",@progbits
	.p2align	6, 0x0
	.amdhsa_kernel _ZN9rocsparseL27csrsv_analysis_lower_kernelILj1024ELj32ELb0EiiEEvT3_PKT2_PKS1_PS2_PiS7_PS1_21rocsparse_index_base_20rocsparse_diag_type_
		.amdhsa_group_segment_fixed_size 128
		.amdhsa_private_segment_fixed_size 0
		.amdhsa_kernarg_size 64
		.amdhsa_user_sgpr_count 2
		.amdhsa_user_sgpr_dispatch_ptr 0
		.amdhsa_user_sgpr_queue_ptr 0
		.amdhsa_user_sgpr_kernarg_segment_ptr 1
		.amdhsa_user_sgpr_dispatch_id 0
		.amdhsa_user_sgpr_kernarg_preload_length 0
		.amdhsa_user_sgpr_kernarg_preload_offset 0
		.amdhsa_user_sgpr_private_segment_size 0
		.amdhsa_wavefront_size32 1
		.amdhsa_uses_dynamic_stack 0
		.amdhsa_enable_private_segment 0
		.amdhsa_system_sgpr_workgroup_id_x 1
		.amdhsa_system_sgpr_workgroup_id_y 0
		.amdhsa_system_sgpr_workgroup_id_z 0
		.amdhsa_system_sgpr_workgroup_info 0
		.amdhsa_system_vgpr_workitem_id 0
		.amdhsa_next_free_vgpr 14
		.amdhsa_next_free_sgpr 19
		.amdhsa_named_barrier_count 0
		.amdhsa_reserve_vcc 1
		.amdhsa_float_round_mode_32 0
		.amdhsa_float_round_mode_16_64 0
		.amdhsa_float_denorm_mode_32 3
		.amdhsa_float_denorm_mode_16_64 3
		.amdhsa_fp16_overflow 0
		.amdhsa_memory_ordered 1
		.amdhsa_forward_progress 1
		.amdhsa_inst_pref_size 10
		.amdhsa_round_robin_scheduling 0
		.amdhsa_exception_fp_ieee_invalid_op 0
		.amdhsa_exception_fp_denorm_src 0
		.amdhsa_exception_fp_ieee_div_zero 0
		.amdhsa_exception_fp_ieee_overflow 0
		.amdhsa_exception_fp_ieee_underflow 0
		.amdhsa_exception_fp_ieee_inexact 0
		.amdhsa_exception_int_div_zero 0
	.end_amdhsa_kernel
	.section	.text._ZN9rocsparseL27csrsv_analysis_lower_kernelILj1024ELj32ELb0EiiEEvT3_PKT2_PKS1_PS2_PiS7_PS1_21rocsparse_index_base_20rocsparse_diag_type_,"axG",@progbits,_ZN9rocsparseL27csrsv_analysis_lower_kernelILj1024ELj32ELb0EiiEEvT3_PKT2_PKS1_PS2_PiS7_PS1_21rocsparse_index_base_20rocsparse_diag_type_,comdat
.Lfunc_end3:
	.size	_ZN9rocsparseL27csrsv_analysis_lower_kernelILj1024ELj32ELb0EiiEEvT3_PKT2_PKS1_PS2_PiS7_PS1_21rocsparse_index_base_20rocsparse_diag_type_, .Lfunc_end3-_ZN9rocsparseL27csrsv_analysis_lower_kernelILj1024ELj32ELb0EiiEEvT3_PKT2_PKS1_PS2_PiS7_PS1_21rocsparse_index_base_20rocsparse_diag_type_
                                        ; -- End function
	.set _ZN9rocsparseL27csrsv_analysis_lower_kernelILj1024ELj32ELb0EiiEEvT3_PKT2_PKS1_PS2_PiS7_PS1_21rocsparse_index_base_20rocsparse_diag_type_.num_vgpr, 14
	.set _ZN9rocsparseL27csrsv_analysis_lower_kernelILj1024ELj32ELb0EiiEEvT3_PKT2_PKS1_PS2_PiS7_PS1_21rocsparse_index_base_20rocsparse_diag_type_.num_agpr, 0
	.set _ZN9rocsparseL27csrsv_analysis_lower_kernelILj1024ELj32ELb0EiiEEvT3_PKT2_PKS1_PS2_PiS7_PS1_21rocsparse_index_base_20rocsparse_diag_type_.numbered_sgpr, 19
	.set _ZN9rocsparseL27csrsv_analysis_lower_kernelILj1024ELj32ELb0EiiEEvT3_PKT2_PKS1_PS2_PiS7_PS1_21rocsparse_index_base_20rocsparse_diag_type_.num_named_barrier, 0
	.set _ZN9rocsparseL27csrsv_analysis_lower_kernelILj1024ELj32ELb0EiiEEvT3_PKT2_PKS1_PS2_PiS7_PS1_21rocsparse_index_base_20rocsparse_diag_type_.private_seg_size, 0
	.set _ZN9rocsparseL27csrsv_analysis_lower_kernelILj1024ELj32ELb0EiiEEvT3_PKT2_PKS1_PS2_PiS7_PS1_21rocsparse_index_base_20rocsparse_diag_type_.uses_vcc, 1
	.set _ZN9rocsparseL27csrsv_analysis_lower_kernelILj1024ELj32ELb0EiiEEvT3_PKT2_PKS1_PS2_PiS7_PS1_21rocsparse_index_base_20rocsparse_diag_type_.uses_flat_scratch, 0
	.set _ZN9rocsparseL27csrsv_analysis_lower_kernelILj1024ELj32ELb0EiiEEvT3_PKT2_PKS1_PS2_PiS7_PS1_21rocsparse_index_base_20rocsparse_diag_type_.has_dyn_sized_stack, 0
	.set _ZN9rocsparseL27csrsv_analysis_lower_kernelILj1024ELj32ELb0EiiEEvT3_PKT2_PKS1_PS2_PiS7_PS1_21rocsparse_index_base_20rocsparse_diag_type_.has_recursion, 0
	.set _ZN9rocsparseL27csrsv_analysis_lower_kernelILj1024ELj32ELb0EiiEEvT3_PKT2_PKS1_PS2_PiS7_PS1_21rocsparse_index_base_20rocsparse_diag_type_.has_indirect_call, 0
	.section	.AMDGPU.csdata,"",@progbits
; Kernel info:
; codeLenInByte = 1228
; TotalNumSgprs: 21
; NumVgprs: 14
; ScratchSize: 0
; MemoryBound: 0
; FloatMode: 240
; IeeeMode: 1
; LDSByteSize: 128 bytes/workgroup (compile time only)
; SGPRBlocks: 0
; VGPRBlocks: 0
; NumSGPRsForWavesPerEU: 21
; NumVGPRsForWavesPerEU: 14
; NamedBarCnt: 0
; Occupancy: 16
; WaveLimiterHint : 1
; COMPUTE_PGM_RSRC2:SCRATCH_EN: 0
; COMPUTE_PGM_RSRC2:USER_SGPR: 2
; COMPUTE_PGM_RSRC2:TRAP_HANDLER: 0
; COMPUTE_PGM_RSRC2:TGID_X_EN: 1
; COMPUTE_PGM_RSRC2:TGID_Y_EN: 0
; COMPUTE_PGM_RSRC2:TGID_Z_EN: 0
; COMPUTE_PGM_RSRC2:TIDIG_COMP_CNT: 0
	.section	.text._ZN9rocsparseL27csrsv_analysis_upper_kernelILj1024ELj64ELb0EiiEEvT3_PKT2_PKS1_PS2_PiS7_PS1_21rocsparse_index_base_20rocsparse_diag_type_,"axG",@progbits,_ZN9rocsparseL27csrsv_analysis_upper_kernelILj1024ELj64ELb0EiiEEvT3_PKT2_PKS1_PS2_PiS7_PS1_21rocsparse_index_base_20rocsparse_diag_type_,comdat
	.globl	_ZN9rocsparseL27csrsv_analysis_upper_kernelILj1024ELj64ELb0EiiEEvT3_PKT2_PKS1_PS2_PiS7_PS1_21rocsparse_index_base_20rocsparse_diag_type_ ; -- Begin function _ZN9rocsparseL27csrsv_analysis_upper_kernelILj1024ELj64ELb0EiiEEvT3_PKT2_PKS1_PS2_PiS7_PS1_21rocsparse_index_base_20rocsparse_diag_type_
	.p2align	8
	.type	_ZN9rocsparseL27csrsv_analysis_upper_kernelILj1024ELj64ELb0EiiEEvT3_PKT2_PKS1_PS2_PiS7_PS1_21rocsparse_index_base_20rocsparse_diag_type_,@function
_ZN9rocsparseL27csrsv_analysis_upper_kernelILj1024ELj64ELb0EiiEEvT3_PKT2_PKS1_PS2_PiS7_PS1_21rocsparse_index_base_20rocsparse_diag_type_: ; @_ZN9rocsparseL27csrsv_analysis_upper_kernelILj1024ELj64ELb0EiiEEvT3_PKT2_PKS1_PS2_PiS7_PS1_21rocsparse_index_base_20rocsparse_diag_type_
; %bb.0:
	s_load_b32 s12, s[0:1], 0x0
	s_bfe_u32 s2, ttmp6, 0x4000c
	s_and_b32 s3, ttmp6, 15
	s_add_co_i32 s2, s2, 1
	s_getreg_b32 s4, hwreg(HW_REG_IB_STS2, 6, 4)
	s_mul_i32 s2, ttmp9, s2
	v_dual_lshrrev_b32 v1, 6, v0 :: v_dual_mov_b32 v5, 0
	s_add_co_i32 s3, s3, s2
	s_cmp_eq_u32 s4, 0
	s_cselect_b32 s2, ttmp9, s3
	s_delay_alu instid0(SALU_CYCLE_1) | instskip(NEXT) | instid1(SALU_CYCLE_1)
	s_lshl_b32 s13, s2, 4
	s_not_b32 s2, s13
	s_wait_kmcnt 0x0
	s_add_co_i32 s14, s12, s2
	s_delay_alu instid0(SALU_CYCLE_1)
	v_dual_lshlrev_b32 v8, 2, v1 :: v_dual_sub_nc_u32 v2, s14, v1
	s_mov_b32 s2, exec_lo
	ds_store_b32 v8, v5
	s_wait_dscnt 0x0
	s_barrier_signal -1
	s_barrier_wait -1
	v_cmpx_lt_i32_e32 -1, v2
	s_cbranch_execz .LBB4_32
; %bb.1:
	s_clause 0x1
	s_load_b64 s[4:5], s[0:1], 0x18
	s_load_b64 s[2:3], s[0:1], 0x8
	v_dual_mov_b32 v3, v5 :: v_dual_bitop2_b32 v9, 63, v0 bitop3:0x40
	s_wait_kmcnt 0x0
	s_delay_alu instid0(VALU_DEP_1) | instskip(SKIP_1) | instid1(VALU_DEP_2)
	v_lshl_add_u64 v[0:1], v[2:3], 2, s[4:5]
	s_mov_b32 s4, exec_lo
	v_cmpx_eq_u32_e32 0, v9
	s_cbranch_execz .LBB4_3
; %bb.2:
	v_mov_b32_e32 v4, -1
	global_store_b32 v[0:1], v4, off
.LBB4_3:
	s_wait_xcnt 0x0
	s_or_b32 exec_lo, exec_lo, s4
	v_lshl_add_u64 v[6:7], v[2:3], 2, s[2:3]
	s_load_b256 s[4:11], s[0:1], 0x20
	s_mov_b32 s2, exec_lo
	global_load_b64 v[6:7], v[6:7], off
	s_wait_loadcnt 0x0
	s_wait_kmcnt 0x0
	v_subrev_nc_u32_e32 v10, s10, v7
	v_subrev_nc_u32_e32 v11, s10, v6
	s_wait_xcnt 0x0
	s_delay_alu instid0(VALU_DEP_2) | instskip(NEXT) | instid1(VALU_DEP_1)
	v_xad_u32 v6, v9, -1, v10
	v_cmpx_ge_i32_e64 v6, v11
	s_cbranch_execz .LBB4_22
; %bb.4:
	s_load_b64 s[0:1], s[0:1], 0x10
	v_mov_b32_e32 v5, 0
	s_mov_b32 s15, 0
                                        ; implicit-def: $sgpr3
                                        ; implicit-def: $sgpr17
                                        ; implicit-def: $sgpr16
	s_branch .LBB4_7
.LBB4_5:                                ;   in Loop: Header=BB4_7 Depth=1
	s_or_b32 exec_lo, exec_lo, s19
	v_subrev_nc_u32_e32 v6, 64, v13
	v_max_i32_e32 v5, v5, v12
	s_and_not1_b32 s17, s17, exec_lo
	s_and_not1_b32 s16, s16, exec_lo
	s_delay_alu instid0(VALU_DEP_2) | instskip(SKIP_1) | instid1(SALU_CYCLE_1)
	v_cmp_lt_i32_e32 vcc_lo, v6, v11
	s_and_b32 s19, vcc_lo, exec_lo
	s_or_b32 s17, s17, s19
.LBB4_6:                                ;   in Loop: Header=BB4_7 Depth=1
	s_or_b32 exec_lo, exec_lo, s18
	s_delay_alu instid0(SALU_CYCLE_1) | instskip(NEXT) | instid1(SALU_CYCLE_1)
	s_and_b32 s18, exec_lo, s17
	s_or_b32 s15, s18, s15
	s_and_not1_b32 s3, s3, exec_lo
	s_and_b32 s18, s16, exec_lo
	s_delay_alu instid0(SALU_CYCLE_1)
	s_or_b32 s3, s3, s18
	s_and_not1_b32 exec_lo, exec_lo, s15
	s_cbranch_execz .LBB4_12
.LBB4_7:                                ; =>This Loop Header: Depth=1
                                        ;     Child Loop BB4_10 Depth 2
	s_wait_kmcnt 0x0
	global_load_b32 v4, v6, s[0:1] scale_offset th:TH_LOAD_NT
	v_dual_mov_b32 v13, v6 :: v_dual_mov_b32 v12, v5
	s_or_b32 s16, s16, exec_lo
	s_or_b32 s17, s17, exec_lo
	s_mov_b32 s18, exec_lo
                                        ; implicit-def: $vgpr6
                                        ; implicit-def: $vgpr5
	s_wait_loadcnt 0x0
	v_subrev_nc_u32_e32 v4, s10, v4
	s_wait_xcnt 0x0
	s_delay_alu instid0(VALU_DEP_1)
	v_cmpx_lt_i32_e64 s14, v4
	s_cbranch_execz .LBB4_6
; %bb.8:                                ;   in Loop: Header=BB4_7 Depth=1
	global_load_b32 v5, v4, s[4:5] scale_offset scope:SCOPE_DEV
	s_mov_b32 s19, exec_lo
	s_wait_loadcnt 0x0
	v_cmpx_eq_u32_e32 0, v5
	s_cbranch_execz .LBB4_5
; %bb.9:                                ;   in Loop: Header=BB4_7 Depth=1
	v_ashrrev_i32_e32 v5, 31, v4
	s_mov_b32 s20, 0
	s_delay_alu instid0(VALU_DEP_1)
	v_lshl_add_u64 v[6:7], v[4:5], 2, s[4:5]
.LBB4_10:                               ;   Parent Loop BB4_7 Depth=1
                                        ; =>  This Inner Loop Header: Depth=2
	global_load_b32 v5, v[6:7], off scope:SCOPE_DEV
	s_wait_loadcnt 0x0
	v_cmp_ne_u32_e32 vcc_lo, 0, v5
	s_or_b32 s20, vcc_lo, s20
	s_wait_xcnt 0x0
	s_and_not1_b32 exec_lo, exec_lo, s20
	s_cbranch_execnz .LBB4_10
; %bb.11:                               ;   in Loop: Header=BB4_7 Depth=1
	s_or_b32 exec_lo, exec_lo, s20
	s_branch .LBB4_5
.LBB4_12:
	s_or_b32 exec_lo, exec_lo, s15
	s_and_saveexec_b32 s0, s3
	s_delay_alu instid0(SALU_CYCLE_1)
	s_xor_b32 s0, exec_lo, s0
	s_cbranch_execz .LBB4_21
; %bb.13:
	s_mov_b32 s1, exec_lo
	v_cmpx_eq_u32_e64 v4, v2
	s_cbranch_execz .LBB4_15
; %bb.14:
	global_store_b32 v[0:1], v13, off
.LBB4_15:
	s_wait_xcnt 0x0
	s_or_b32 exec_lo, exec_lo, s1
	s_delay_alu instid0(SALU_CYCLE_1)
	s_mov_b32 s1, exec_lo
	v_cmpx_gt_i32_e64 v4, v2
	s_cbranch_execz .LBB4_20
; %bb.16:
	s_xor_b32 s3, s13, 0x3ffffff0
	s_delay_alu instid0(SALU_CYCLE_1) | instskip(SKIP_3) | instid1(VALU_DEP_1)
	s_add_co_i32 s12, s12, s3
	s_mov_b32 s3, exec_lo
	v_sub_nc_u32_e32 v4, s12, v4
	s_mov_b32 s12, 0
	v_lshlrev_b32_e32 v5, 2, v4
	ds_load_b32 v4, v5 offset:60
	s_wait_dscnt 0x0
	v_cmpx_eq_u32_e32 0, v4
	s_cbranch_execz .LBB4_19
.LBB4_17:                               ; =>This Inner Loop Header: Depth=1
	ds_load_b32 v4, v5 offset:60
	s_wait_dscnt 0x0
	v_cmp_ne_u32_e32 vcc_lo, 0, v4
	s_or_b32 s12, vcc_lo, s12
	s_delay_alu instid0(SALU_CYCLE_1)
	s_and_not1_b32 exec_lo, exec_lo, s12
	s_cbranch_execnz .LBB4_17
; %bb.18:
	s_or_b32 exec_lo, exec_lo, s12
.LBB4_19:
	s_delay_alu instid0(SALU_CYCLE_1)
	s_or_b32 exec_lo, exec_lo, s3
	v_max_i32_e32 v12, v4, v12
.LBB4_20:
	s_or_b32 exec_lo, exec_lo, s1
	s_delay_alu instid0(VALU_DEP_1)
	v_mov_b32_e32 v5, v12
.LBB4_21:
	s_or_b32 exec_lo, exec_lo, s0
.LBB4_22:
	s_delay_alu instid0(SALU_CYCLE_1) | instskip(SKIP_2) | instid1(VALU_DEP_1)
	s_or_b32 exec_lo, exec_lo, s2
	v_mbcnt_lo_u32_b32 v4, -1, 0
	s_wait_storecnt 0x0
	v_xor_b32_e32 v7, 16, v4
	v_or_b32_e32 v6, 32, v4
	s_delay_alu instid0(VALU_DEP_1) | instskip(SKIP_1) | instid1(VALU_DEP_4)
	v_cmp_gt_i32_e32 vcc_lo, 32, v6
	v_cndmask_b32_e32 v6, v4, v6, vcc_lo
	v_cmp_gt_i32_e32 vcc_lo, 32, v7
	v_cndmask_b32_e32 v7, v4, v7, vcc_lo
	s_delay_alu instid0(VALU_DEP_1)
	v_dual_lshlrev_b32 v7, 2, v7 :: v_dual_lshlrev_b32 v6, 2, v6
	ds_bpermute_b32 v6, v6, v5
	s_wait_dscnt 0x0
	v_max_i32_e32 v5, v5, v6
	ds_bpermute_b32 v6, v7, v5
	v_xor_b32_e32 v7, 8, v4
	s_delay_alu instid0(VALU_DEP_1) | instskip(SKIP_2) | instid1(VALU_DEP_1)
	v_cmp_gt_i32_e32 vcc_lo, 32, v7
	v_cndmask_b32_e32 v7, v4, v7, vcc_lo
	s_wait_dscnt 0x0
	v_dual_lshlrev_b32 v7, 2, v7 :: v_dual_max_i32 v5, v5, v6
	ds_bpermute_b32 v6, v7, v5
	v_xor_b32_e32 v7, 4, v4
	s_delay_alu instid0(VALU_DEP_1) | instskip(SKIP_2) | instid1(VALU_DEP_1)
	v_cmp_gt_i32_e32 vcc_lo, 32, v7
	s_wait_dscnt 0x0
	v_dual_cndmask_b32 v7, v4, v7, vcc_lo :: v_dual_max_i32 v5, v5, v6
	v_lshlrev_b32_e32 v7, 2, v7
	ds_bpermute_b32 v6, v7, v5
	v_xor_b32_e32 v7, 2, v4
	s_delay_alu instid0(VALU_DEP_1) | instskip(SKIP_2) | instid1(VALU_DEP_1)
	v_cmp_gt_i32_e32 vcc_lo, 32, v7
	s_wait_dscnt 0x0
	v_dual_cndmask_b32 v7, v4, v7, vcc_lo :: v_dual_max_i32 v5, v5, v6
	v_lshlrev_b32_e32 v7, 2, v7
	ds_bpermute_b32 v6, v7, v5
	v_xor_b32_e32 v7, 1, v4
	s_delay_alu instid0(VALU_DEP_1) | instskip(SKIP_3) | instid1(VALU_DEP_2)
	v_cmp_gt_i32_e32 vcc_lo, 32, v7
	v_cndmask_b32_e32 v7, v4, v7, vcc_lo
	v_cmp_eq_u32_e32 vcc_lo, 63, v9
	s_wait_dscnt 0x0
	v_dual_lshlrev_b32 v5, 2, v7 :: v_dual_max_i32 v4, v5, v6
	ds_bpermute_b32 v5, v5, v4
	s_and_b32 exec_lo, exec_lo, vcc_lo
	s_cbranch_execz .LBB4_32
; %bb.23:
	s_wait_dscnt 0x0
	v_max_i32_e32 v4, v4, v5
	s_mov_b32 s1, exec_lo
	s_brev_b32 s0, 1
	s_delay_alu instid0(VALU_DEP_1)
	v_add_nc_u32_e32 v6, 1, v4
	v_lshl_add_u64 v[4:5], v[2:3], 2, s[4:5]
	v_sub_nc_u32_e32 v3, v10, v11
	ds_store_b32 v8, v6
	global_store_b32 v[4:5], v6, off scope:SCOPE_DEV
.LBB4_24:                               ; =>This Inner Loop Header: Depth=1
	s_ctz_i32_b32 s2, s1
	s_delay_alu instid0(SALU_CYCLE_1) | instskip(SKIP_1) | instid1(SALU_CYCLE_1)
	v_readlane_b32 s3, v3, s2
	s_lshl_b32 s2, 1, s2
	s_and_not1_b32 s1, s1, s2
	s_max_i32 s0, s0, s3
	s_cmp_lg_u32 s1, 0
	s_cbranch_scc1 .LBB4_24
; %bb.25:
	v_mbcnt_lo_u32_b32 v3, exec_lo, 0
	s_mov_b32 s1, exec_lo
	s_wait_xcnt 0x0
	s_delay_alu instid0(VALU_DEP_1)
	v_cmpx_eq_u32_e32 0, v3
	s_xor_b32 s1, exec_lo, s1
	s_cbranch_execz .LBB4_27
; %bb.26:
	v_dual_mov_b32 v3, 0 :: v_dual_mov_b32 v4, s0
	global_atomic_max_i32 v3, v4, s[6:7] scope:SCOPE_DEV
.LBB4_27:
	s_wait_xcnt 0x0
	s_or_b32 exec_lo, exec_lo, s1
	global_load_b32 v0, v[0:1], off
	s_cmp_eq_u32 s11, 0
	s_cselect_b32 s0, -1, 0
	s_wait_loadcnt 0x0
	v_cmp_eq_u32_e32 vcc_lo, -1, v0
	s_and_b32 s0, s0, vcc_lo
	s_wait_xcnt 0x0
	s_and_b32 exec_lo, exec_lo, s0
	s_cbranch_execz .LBB4_32
; %bb.28:
	v_add_nc_u32_e32 v0, s10, v2
	s_mov_b32 s1, exec_lo
	s_brev_b32 s0, -2
.LBB4_29:                               ; =>This Inner Loop Header: Depth=1
	s_ctz_i32_b32 s2, s1
	s_delay_alu instid0(VALU_DEP_1) | instid1(SALU_CYCLE_1)
	v_readlane_b32 s3, v0, s2
	s_lshl_b32 s2, 1, s2
	s_delay_alu instid0(SALU_CYCLE_1)
	s_and_not1_b32 s1, s1, s2
	s_min_i32 s0, s0, s3
	s_cmp_lg_u32 s1, 0
	s_cbranch_scc1 .LBB4_29
; %bb.30:
	v_mbcnt_lo_u32_b32 v0, exec_lo, 0
	s_mov_b32 s1, exec_lo
	s_delay_alu instid0(VALU_DEP_1)
	v_cmpx_eq_u32_e32 0, v0
	s_xor_b32 s1, exec_lo, s1
	s_cbranch_execz .LBB4_32
; %bb.31:
	v_dual_mov_b32 v0, 0 :: v_dual_mov_b32 v1, s0
	global_atomic_min_i32 v0, v1, s[8:9] scope:SCOPE_DEV
.LBB4_32:
	s_endpgm
	.section	.rodata,"a",@progbits
	.p2align	6, 0x0
	.amdhsa_kernel _ZN9rocsparseL27csrsv_analysis_upper_kernelILj1024ELj64ELb0EiiEEvT3_PKT2_PKS1_PS2_PiS7_PS1_21rocsparse_index_base_20rocsparse_diag_type_
		.amdhsa_group_segment_fixed_size 64
		.amdhsa_private_segment_fixed_size 0
		.amdhsa_kernarg_size 64
		.amdhsa_user_sgpr_count 2
		.amdhsa_user_sgpr_dispatch_ptr 0
		.amdhsa_user_sgpr_queue_ptr 0
		.amdhsa_user_sgpr_kernarg_segment_ptr 1
		.amdhsa_user_sgpr_dispatch_id 0
		.amdhsa_user_sgpr_kernarg_preload_length 0
		.amdhsa_user_sgpr_kernarg_preload_offset 0
		.amdhsa_user_sgpr_private_segment_size 0
		.amdhsa_wavefront_size32 1
		.amdhsa_uses_dynamic_stack 0
		.amdhsa_enable_private_segment 0
		.amdhsa_system_sgpr_workgroup_id_x 1
		.amdhsa_system_sgpr_workgroup_id_y 0
		.amdhsa_system_sgpr_workgroup_id_z 0
		.amdhsa_system_sgpr_workgroup_info 0
		.amdhsa_system_vgpr_workitem_id 0
		.amdhsa_next_free_vgpr 14
		.amdhsa_next_free_sgpr 21
		.amdhsa_named_barrier_count 0
		.amdhsa_reserve_vcc 1
		.amdhsa_float_round_mode_32 0
		.amdhsa_float_round_mode_16_64 0
		.amdhsa_float_denorm_mode_32 3
		.amdhsa_float_denorm_mode_16_64 3
		.amdhsa_fp16_overflow 0
		.amdhsa_memory_ordered 1
		.amdhsa_forward_progress 1
		.amdhsa_inst_pref_size 11
		.amdhsa_round_robin_scheduling 0
		.amdhsa_exception_fp_ieee_invalid_op 0
		.amdhsa_exception_fp_denorm_src 0
		.amdhsa_exception_fp_ieee_div_zero 0
		.amdhsa_exception_fp_ieee_overflow 0
		.amdhsa_exception_fp_ieee_underflow 0
		.amdhsa_exception_fp_ieee_inexact 0
		.amdhsa_exception_int_div_zero 0
	.end_amdhsa_kernel
	.section	.text._ZN9rocsparseL27csrsv_analysis_upper_kernelILj1024ELj64ELb0EiiEEvT3_PKT2_PKS1_PS2_PiS7_PS1_21rocsparse_index_base_20rocsparse_diag_type_,"axG",@progbits,_ZN9rocsparseL27csrsv_analysis_upper_kernelILj1024ELj64ELb0EiiEEvT3_PKT2_PKS1_PS2_PiS7_PS1_21rocsparse_index_base_20rocsparse_diag_type_,comdat
.Lfunc_end4:
	.size	_ZN9rocsparseL27csrsv_analysis_upper_kernelILj1024ELj64ELb0EiiEEvT3_PKT2_PKS1_PS2_PiS7_PS1_21rocsparse_index_base_20rocsparse_diag_type_, .Lfunc_end4-_ZN9rocsparseL27csrsv_analysis_upper_kernelILj1024ELj64ELb0EiiEEvT3_PKT2_PKS1_PS2_PiS7_PS1_21rocsparse_index_base_20rocsparse_diag_type_
                                        ; -- End function
	.set _ZN9rocsparseL27csrsv_analysis_upper_kernelILj1024ELj64ELb0EiiEEvT3_PKT2_PKS1_PS2_PiS7_PS1_21rocsparse_index_base_20rocsparse_diag_type_.num_vgpr, 14
	.set _ZN9rocsparseL27csrsv_analysis_upper_kernelILj1024ELj64ELb0EiiEEvT3_PKT2_PKS1_PS2_PiS7_PS1_21rocsparse_index_base_20rocsparse_diag_type_.num_agpr, 0
	.set _ZN9rocsparseL27csrsv_analysis_upper_kernelILj1024ELj64ELb0EiiEEvT3_PKT2_PKS1_PS2_PiS7_PS1_21rocsparse_index_base_20rocsparse_diag_type_.numbered_sgpr, 21
	.set _ZN9rocsparseL27csrsv_analysis_upper_kernelILj1024ELj64ELb0EiiEEvT3_PKT2_PKS1_PS2_PiS7_PS1_21rocsparse_index_base_20rocsparse_diag_type_.num_named_barrier, 0
	.set _ZN9rocsparseL27csrsv_analysis_upper_kernelILj1024ELj64ELb0EiiEEvT3_PKT2_PKS1_PS2_PiS7_PS1_21rocsparse_index_base_20rocsparse_diag_type_.private_seg_size, 0
	.set _ZN9rocsparseL27csrsv_analysis_upper_kernelILj1024ELj64ELb0EiiEEvT3_PKT2_PKS1_PS2_PiS7_PS1_21rocsparse_index_base_20rocsparse_diag_type_.uses_vcc, 1
	.set _ZN9rocsparseL27csrsv_analysis_upper_kernelILj1024ELj64ELb0EiiEEvT3_PKT2_PKS1_PS2_PiS7_PS1_21rocsparse_index_base_20rocsparse_diag_type_.uses_flat_scratch, 0
	.set _ZN9rocsparseL27csrsv_analysis_upper_kernelILj1024ELj64ELb0EiiEEvT3_PKT2_PKS1_PS2_PiS7_PS1_21rocsparse_index_base_20rocsparse_diag_type_.has_dyn_sized_stack, 0
	.set _ZN9rocsparseL27csrsv_analysis_upper_kernelILj1024ELj64ELb0EiiEEvT3_PKT2_PKS1_PS2_PiS7_PS1_21rocsparse_index_base_20rocsparse_diag_type_.has_recursion, 0
	.set _ZN9rocsparseL27csrsv_analysis_upper_kernelILj1024ELj64ELb0EiiEEvT3_PKT2_PKS1_PS2_PiS7_PS1_21rocsparse_index_base_20rocsparse_diag_type_.has_indirect_call, 0
	.section	.AMDGPU.csdata,"",@progbits
; Kernel info:
; codeLenInByte = 1288
; TotalNumSgprs: 23
; NumVgprs: 14
; ScratchSize: 0
; MemoryBound: 0
; FloatMode: 240
; IeeeMode: 1
; LDSByteSize: 64 bytes/workgroup (compile time only)
; SGPRBlocks: 0
; VGPRBlocks: 0
; NumSGPRsForWavesPerEU: 23
; NumVGPRsForWavesPerEU: 14
; NamedBarCnt: 0
; Occupancy: 16
; WaveLimiterHint : 1
; COMPUTE_PGM_RSRC2:SCRATCH_EN: 0
; COMPUTE_PGM_RSRC2:USER_SGPR: 2
; COMPUTE_PGM_RSRC2:TRAP_HANDLER: 0
; COMPUTE_PGM_RSRC2:TGID_X_EN: 1
; COMPUTE_PGM_RSRC2:TGID_Y_EN: 0
; COMPUTE_PGM_RSRC2:TGID_Z_EN: 0
; COMPUTE_PGM_RSRC2:TIDIG_COMP_CNT: 0
	.section	.text._ZN9rocsparseL27csrsv_analysis_lower_kernelILj1024ELj64ELb0EiiEEvT3_PKT2_PKS1_PS2_PiS7_PS1_21rocsparse_index_base_20rocsparse_diag_type_,"axG",@progbits,_ZN9rocsparseL27csrsv_analysis_lower_kernelILj1024ELj64ELb0EiiEEvT3_PKT2_PKS1_PS2_PiS7_PS1_21rocsparse_index_base_20rocsparse_diag_type_,comdat
	.globl	_ZN9rocsparseL27csrsv_analysis_lower_kernelILj1024ELj64ELb0EiiEEvT3_PKT2_PKS1_PS2_PiS7_PS1_21rocsparse_index_base_20rocsparse_diag_type_ ; -- Begin function _ZN9rocsparseL27csrsv_analysis_lower_kernelILj1024ELj64ELb0EiiEEvT3_PKT2_PKS1_PS2_PiS7_PS1_21rocsparse_index_base_20rocsparse_diag_type_
	.p2align	8
	.type	_ZN9rocsparseL27csrsv_analysis_lower_kernelILj1024ELj64ELb0EiiEEvT3_PKT2_PKS1_PS2_PiS7_PS1_21rocsparse_index_base_20rocsparse_diag_type_,@function
_ZN9rocsparseL27csrsv_analysis_lower_kernelILj1024ELj64ELb0EiiEEvT3_PKT2_PKS1_PS2_PiS7_PS1_21rocsparse_index_base_20rocsparse_diag_type_: ; @_ZN9rocsparseL27csrsv_analysis_lower_kernelILj1024ELj64ELb0EiiEEvT3_PKT2_PKS1_PS2_PiS7_PS1_21rocsparse_index_base_20rocsparse_diag_type_
; %bb.0:
	s_load_b32 s2, s[0:1], 0x0
	s_bfe_u32 s3, ttmp6, 0x4000c
	s_and_b32 s4, ttmp6, 15
	s_add_co_i32 s3, s3, 1
	s_getreg_b32 s5, hwreg(HW_REG_IB_STS2, 6, 4)
	s_mul_i32 s3, ttmp9, s3
	v_dual_lshrrev_b32 v1, 6, v0 :: v_dual_mov_b32 v3, 0
	s_add_co_i32 s4, s4, s3
	s_cmp_eq_u32 s5, 0
	s_cselect_b32 s3, ttmp9, s4
	s_delay_alu instid0(SALU_CYCLE_1) | instskip(NEXT) | instid1(SALU_CYCLE_1)
	s_lshl_b32 s12, s3, 4
	v_dual_lshlrev_b32 v8, 2, v1 :: v_dual_bitop2_b32 v2, s12, v1 bitop3:0x54
	ds_store_b32 v8, v3
	s_wait_kmcnt 0x0
	v_cmp_gt_i32_e32 vcc_lo, s2, v2
	s_wait_dscnt 0x0
	s_barrier_signal -1
	s_barrier_wait -1
	s_and_saveexec_b32 s2, vcc_lo
	s_cbranch_execz .LBB5_32
; %bb.1:
	s_clause 0x1
	s_load_b64 s[4:5], s[0:1], 0x18
	s_load_b64 s[2:3], s[0:1], 0x8
	v_dual_ashrrev_i32 v3, 31, v2 :: v_dual_bitop2_b32 v9, 63, v0 bitop3:0x40
	s_wait_kmcnt 0x0
	s_delay_alu instid0(VALU_DEP_1) | instskip(SKIP_1) | instid1(VALU_DEP_2)
	v_lshl_add_u64 v[0:1], v[2:3], 2, s[4:5]
	s_mov_b32 s4, exec_lo
	v_cmpx_eq_u32_e32 0, v9
	s_cbranch_execz .LBB5_3
; %bb.2:
	v_mov_b32_e32 v4, -1
	global_store_b32 v[0:1], v4, off
.LBB5_3:
	s_wait_xcnt 0x0
	s_or_b32 exec_lo, exec_lo, s4
	v_lshl_add_u64 v[4:5], v[2:3], 2, s[2:3]
	s_load_b256 s[4:11], s[0:1], 0x20
	s_mov_b32 s2, exec_lo
	global_load_b64 v[4:5], v[4:5], off
	s_wait_loadcnt 0x0
	s_wait_kmcnt 0x0
	v_subrev_nc_u32_e32 v10, s10, v4
	v_subrev_nc_u32_e32 v11, s10, v5
	s_wait_xcnt 0x0
	s_delay_alu instid0(VALU_DEP_2) | instskip(NEXT) | instid1(VALU_DEP_1)
	v_dual_mov_b32 v5, 0 :: v_dual_add_nc_u32 v6, v10, v9
	v_cmpx_lt_i32_e64 v6, v11
	s_cbranch_execz .LBB5_22
; %bb.4:
	s_load_b64 s[0:1], s[0:1], 0x10
	v_mov_b32_e32 v5, 0
	s_mov_b32 s13, 0
                                        ; implicit-def: $sgpr3
                                        ; implicit-def: $sgpr15
                                        ; implicit-def: $sgpr14
	s_branch .LBB5_7
.LBB5_5:                                ;   in Loop: Header=BB5_7 Depth=1
	s_or_b32 exec_lo, exec_lo, s17
	v_dual_add_nc_u32 v6, 64, v13 :: v_dual_max_i32 v5, v5, v12
	s_and_not1_b32 s15, s15, exec_lo
	s_and_not1_b32 s14, s14, exec_lo
	s_delay_alu instid0(VALU_DEP_1) | instskip(SKIP_1) | instid1(SALU_CYCLE_1)
	v_cmp_ge_i32_e32 vcc_lo, v6, v11
	s_and_b32 s17, vcc_lo, exec_lo
	s_or_b32 s15, s15, s17
.LBB5_6:                                ;   in Loop: Header=BB5_7 Depth=1
	s_or_b32 exec_lo, exec_lo, s16
	s_delay_alu instid0(SALU_CYCLE_1) | instskip(NEXT) | instid1(SALU_CYCLE_1)
	s_and_b32 s16, exec_lo, s15
	s_or_b32 s13, s16, s13
	s_and_not1_b32 s3, s3, exec_lo
	s_and_b32 s16, s14, exec_lo
	s_delay_alu instid0(SALU_CYCLE_1)
	s_or_b32 s3, s3, s16
	s_and_not1_b32 exec_lo, exec_lo, s13
	s_cbranch_execz .LBB5_12
.LBB5_7:                                ; =>This Loop Header: Depth=1
                                        ;     Child Loop BB5_10 Depth 2
	s_wait_kmcnt 0x0
	global_load_b32 v4, v6, s[0:1] scale_offset th:TH_LOAD_NT
	v_dual_mov_b32 v13, v6 :: v_dual_mov_b32 v12, v5
	s_or_b32 s14, s14, exec_lo
	s_or_b32 s15, s15, exec_lo
	s_mov_b32 s16, exec_lo
                                        ; implicit-def: $vgpr6
                                        ; implicit-def: $vgpr5
	s_wait_loadcnt 0x0
	v_subrev_nc_u32_e32 v4, s10, v4
	s_wait_xcnt 0x0
	s_delay_alu instid0(VALU_DEP_1)
	v_cmpx_gt_i32_e64 s12, v4
	s_cbranch_execz .LBB5_6
; %bb.8:                                ;   in Loop: Header=BB5_7 Depth=1
	global_load_b32 v5, v4, s[4:5] scale_offset scope:SCOPE_DEV
	s_mov_b32 s17, exec_lo
	s_wait_loadcnt 0x0
	v_cmpx_eq_u32_e32 0, v5
	s_cbranch_execz .LBB5_5
; %bb.9:                                ;   in Loop: Header=BB5_7 Depth=1
	v_ashrrev_i32_e32 v5, 31, v4
	s_mov_b32 s18, 0
	s_delay_alu instid0(VALU_DEP_1)
	v_lshl_add_u64 v[6:7], v[4:5], 2, s[4:5]
.LBB5_10:                               ;   Parent Loop BB5_7 Depth=1
                                        ; =>  This Inner Loop Header: Depth=2
	global_load_b32 v5, v[6:7], off scope:SCOPE_DEV
	s_wait_loadcnt 0x0
	v_cmp_ne_u32_e32 vcc_lo, 0, v5
	s_or_b32 s18, vcc_lo, s18
	s_wait_xcnt 0x0
	s_and_not1_b32 exec_lo, exec_lo, s18
	s_cbranch_execnz .LBB5_10
; %bb.11:                               ;   in Loop: Header=BB5_7 Depth=1
	s_or_b32 exec_lo, exec_lo, s18
	s_branch .LBB5_5
.LBB5_12:
	s_or_b32 exec_lo, exec_lo, s13
	s_and_saveexec_b32 s0, s3
	s_delay_alu instid0(SALU_CYCLE_1)
	s_xor_b32 s0, exec_lo, s0
	s_cbranch_execz .LBB5_21
; %bb.13:
	s_mov_b32 s1, exec_lo
	v_cmpx_eq_u32_e64 v4, v2
	s_cbranch_execz .LBB5_15
; %bb.14:
	global_store_b32 v[0:1], v13, off
.LBB5_15:
	s_wait_xcnt 0x0
	s_or_b32 exec_lo, exec_lo, s1
	s_delay_alu instid0(SALU_CYCLE_1)
	s_mov_b32 s1, exec_lo
	v_cmpx_lt_i32_e64 v4, v2
	s_cbranch_execz .LBB5_20
; %bb.16:
	v_subrev_nc_u32_e32 v4, s12, v4
	s_mov_b32 s12, 0
	s_mov_b32 s3, exec_lo
	s_delay_alu instid0(VALU_DEP_1)
	v_lshlrev_b32_e32 v5, 2, v4
	ds_load_b32 v4, v5
	s_wait_dscnt 0x0
	v_cmpx_eq_u32_e32 0, v4
	s_cbranch_execz .LBB5_19
.LBB5_17:                               ; =>This Inner Loop Header: Depth=1
	ds_load_b32 v4, v5
	s_wait_dscnt 0x0
	v_cmp_ne_u32_e32 vcc_lo, 0, v4
	s_or_b32 s12, vcc_lo, s12
	s_delay_alu instid0(SALU_CYCLE_1)
	s_and_not1_b32 exec_lo, exec_lo, s12
	s_cbranch_execnz .LBB5_17
; %bb.18:
	s_or_b32 exec_lo, exec_lo, s12
.LBB5_19:
	s_delay_alu instid0(SALU_CYCLE_1)
	s_or_b32 exec_lo, exec_lo, s3
	v_max_i32_e32 v12, v4, v12
.LBB5_20:
	s_or_b32 exec_lo, exec_lo, s1
	s_delay_alu instid0(VALU_DEP_1)
	v_mov_b32_e32 v5, v12
.LBB5_21:
	s_or_b32 exec_lo, exec_lo, s0
.LBB5_22:
	s_delay_alu instid0(SALU_CYCLE_1) | instskip(SKIP_2) | instid1(VALU_DEP_1)
	s_or_b32 exec_lo, exec_lo, s2
	v_mbcnt_lo_u32_b32 v4, -1, 0
	s_wait_storecnt 0x0
	v_xor_b32_e32 v7, 16, v4
	v_or_b32_e32 v6, 32, v4
	s_delay_alu instid0(VALU_DEP_1) | instskip(SKIP_1) | instid1(VALU_DEP_4)
	v_cmp_gt_i32_e32 vcc_lo, 32, v6
	v_cndmask_b32_e32 v6, v4, v6, vcc_lo
	v_cmp_gt_i32_e32 vcc_lo, 32, v7
	v_cndmask_b32_e32 v7, v4, v7, vcc_lo
	s_delay_alu instid0(VALU_DEP_1)
	v_dual_lshlrev_b32 v7, 2, v7 :: v_dual_lshlrev_b32 v6, 2, v6
	ds_bpermute_b32 v6, v6, v5
	s_wait_dscnt 0x0
	v_max_i32_e32 v5, v5, v6
	ds_bpermute_b32 v6, v7, v5
	v_xor_b32_e32 v7, 8, v4
	s_delay_alu instid0(VALU_DEP_1) | instskip(SKIP_2) | instid1(VALU_DEP_1)
	v_cmp_gt_i32_e32 vcc_lo, 32, v7
	v_cndmask_b32_e32 v7, v4, v7, vcc_lo
	s_wait_dscnt 0x0
	v_dual_lshlrev_b32 v7, 2, v7 :: v_dual_max_i32 v5, v5, v6
	ds_bpermute_b32 v6, v7, v5
	v_xor_b32_e32 v7, 4, v4
	s_delay_alu instid0(VALU_DEP_1) | instskip(SKIP_2) | instid1(VALU_DEP_1)
	v_cmp_gt_i32_e32 vcc_lo, 32, v7
	s_wait_dscnt 0x0
	v_dual_cndmask_b32 v7, v4, v7, vcc_lo :: v_dual_max_i32 v5, v5, v6
	v_lshlrev_b32_e32 v7, 2, v7
	ds_bpermute_b32 v6, v7, v5
	v_xor_b32_e32 v7, 2, v4
	s_delay_alu instid0(VALU_DEP_1) | instskip(SKIP_2) | instid1(VALU_DEP_1)
	v_cmp_gt_i32_e32 vcc_lo, 32, v7
	s_wait_dscnt 0x0
	v_dual_cndmask_b32 v7, v4, v7, vcc_lo :: v_dual_max_i32 v5, v5, v6
	v_lshlrev_b32_e32 v7, 2, v7
	ds_bpermute_b32 v6, v7, v5
	v_xor_b32_e32 v7, 1, v4
	s_delay_alu instid0(VALU_DEP_1) | instskip(SKIP_3) | instid1(VALU_DEP_2)
	v_cmp_gt_i32_e32 vcc_lo, 32, v7
	v_cndmask_b32_e32 v7, v4, v7, vcc_lo
	v_cmp_eq_u32_e32 vcc_lo, 63, v9
	s_wait_dscnt 0x0
	v_dual_lshlrev_b32 v5, 2, v7 :: v_dual_max_i32 v4, v5, v6
	ds_bpermute_b32 v5, v5, v4
	s_and_b32 exec_lo, exec_lo, vcc_lo
	s_cbranch_execz .LBB5_32
; %bb.23:
	s_wait_dscnt 0x0
	v_max_i32_e32 v4, v4, v5
	s_mov_b32 s1, exec_lo
	s_brev_b32 s0, 1
	s_delay_alu instid0(VALU_DEP_1)
	v_add_nc_u32_e32 v6, 1, v4
	v_lshl_add_u64 v[4:5], v[2:3], 2, s[4:5]
	v_sub_nc_u32_e32 v3, v11, v10
	ds_store_b32 v8, v6
	global_store_b32 v[4:5], v6, off scope:SCOPE_DEV
.LBB5_24:                               ; =>This Inner Loop Header: Depth=1
	s_ctz_i32_b32 s2, s1
	s_delay_alu instid0(SALU_CYCLE_1) | instskip(SKIP_1) | instid1(SALU_CYCLE_1)
	v_readlane_b32 s3, v3, s2
	s_lshl_b32 s2, 1, s2
	s_and_not1_b32 s1, s1, s2
	s_max_i32 s0, s0, s3
	s_cmp_lg_u32 s1, 0
	s_cbranch_scc1 .LBB5_24
; %bb.25:
	v_mbcnt_lo_u32_b32 v3, exec_lo, 0
	s_mov_b32 s1, exec_lo
	s_wait_xcnt 0x0
	s_delay_alu instid0(VALU_DEP_1)
	v_cmpx_eq_u32_e32 0, v3
	s_xor_b32 s1, exec_lo, s1
	s_cbranch_execz .LBB5_27
; %bb.26:
	v_dual_mov_b32 v3, 0 :: v_dual_mov_b32 v4, s0
	global_atomic_max_i32 v3, v4, s[6:7] scope:SCOPE_DEV
.LBB5_27:
	s_wait_xcnt 0x0
	s_or_b32 exec_lo, exec_lo, s1
	global_load_b32 v0, v[0:1], off
	s_cmp_eq_u32 s11, 0
	s_cselect_b32 s0, -1, 0
	s_wait_loadcnt 0x0
	v_cmp_eq_u32_e32 vcc_lo, -1, v0
	s_and_b32 s0, s0, vcc_lo
	s_wait_xcnt 0x0
	s_and_b32 exec_lo, exec_lo, s0
	s_cbranch_execz .LBB5_32
; %bb.28:
	v_add_nc_u32_e32 v0, s10, v2
	s_mov_b32 s1, exec_lo
	s_brev_b32 s0, -2
.LBB5_29:                               ; =>This Inner Loop Header: Depth=1
	s_ctz_i32_b32 s2, s1
	s_delay_alu instid0(VALU_DEP_1) | instid1(SALU_CYCLE_1)
	v_readlane_b32 s3, v0, s2
	s_lshl_b32 s2, 1, s2
	s_delay_alu instid0(SALU_CYCLE_1)
	s_and_not1_b32 s1, s1, s2
	s_min_i32 s0, s0, s3
	s_cmp_lg_u32 s1, 0
	s_cbranch_scc1 .LBB5_29
; %bb.30:
	v_mbcnt_lo_u32_b32 v0, exec_lo, 0
	s_mov_b32 s1, exec_lo
	s_delay_alu instid0(VALU_DEP_1)
	v_cmpx_eq_u32_e32 0, v0
	s_xor_b32 s1, exec_lo, s1
	s_cbranch_execz .LBB5_32
; %bb.31:
	v_dual_mov_b32 v0, 0 :: v_dual_mov_b32 v1, s0
	global_atomic_min_i32 v0, v1, s[8:9] scope:SCOPE_DEV
.LBB5_32:
	s_endpgm
	.section	.rodata,"a",@progbits
	.p2align	6, 0x0
	.amdhsa_kernel _ZN9rocsparseL27csrsv_analysis_lower_kernelILj1024ELj64ELb0EiiEEvT3_PKT2_PKS1_PS2_PiS7_PS1_21rocsparse_index_base_20rocsparse_diag_type_
		.amdhsa_group_segment_fixed_size 64
		.amdhsa_private_segment_fixed_size 0
		.amdhsa_kernarg_size 64
		.amdhsa_user_sgpr_count 2
		.amdhsa_user_sgpr_dispatch_ptr 0
		.amdhsa_user_sgpr_queue_ptr 0
		.amdhsa_user_sgpr_kernarg_segment_ptr 1
		.amdhsa_user_sgpr_dispatch_id 0
		.amdhsa_user_sgpr_kernarg_preload_length 0
		.amdhsa_user_sgpr_kernarg_preload_offset 0
		.amdhsa_user_sgpr_private_segment_size 0
		.amdhsa_wavefront_size32 1
		.amdhsa_uses_dynamic_stack 0
		.amdhsa_enable_private_segment 0
		.amdhsa_system_sgpr_workgroup_id_x 1
		.amdhsa_system_sgpr_workgroup_id_y 0
		.amdhsa_system_sgpr_workgroup_id_z 0
		.amdhsa_system_sgpr_workgroup_info 0
		.amdhsa_system_vgpr_workitem_id 0
		.amdhsa_next_free_vgpr 14
		.amdhsa_next_free_sgpr 19
		.amdhsa_named_barrier_count 0
		.amdhsa_reserve_vcc 1
		.amdhsa_float_round_mode_32 0
		.amdhsa_float_round_mode_16_64 0
		.amdhsa_float_denorm_mode_32 3
		.amdhsa_float_denorm_mode_16_64 3
		.amdhsa_fp16_overflow 0
		.amdhsa_memory_ordered 1
		.amdhsa_forward_progress 1
		.amdhsa_inst_pref_size 10
		.amdhsa_round_robin_scheduling 0
		.amdhsa_exception_fp_ieee_invalid_op 0
		.amdhsa_exception_fp_denorm_src 0
		.amdhsa_exception_fp_ieee_div_zero 0
		.amdhsa_exception_fp_ieee_overflow 0
		.amdhsa_exception_fp_ieee_underflow 0
		.amdhsa_exception_fp_ieee_inexact 0
		.amdhsa_exception_int_div_zero 0
	.end_amdhsa_kernel
	.section	.text._ZN9rocsparseL27csrsv_analysis_lower_kernelILj1024ELj64ELb0EiiEEvT3_PKT2_PKS1_PS2_PiS7_PS1_21rocsparse_index_base_20rocsparse_diag_type_,"axG",@progbits,_ZN9rocsparseL27csrsv_analysis_lower_kernelILj1024ELj64ELb0EiiEEvT3_PKT2_PKS1_PS2_PiS7_PS1_21rocsparse_index_base_20rocsparse_diag_type_,comdat
.Lfunc_end5:
	.size	_ZN9rocsparseL27csrsv_analysis_lower_kernelILj1024ELj64ELb0EiiEEvT3_PKT2_PKS1_PS2_PiS7_PS1_21rocsparse_index_base_20rocsparse_diag_type_, .Lfunc_end5-_ZN9rocsparseL27csrsv_analysis_lower_kernelILj1024ELj64ELb0EiiEEvT3_PKT2_PKS1_PS2_PiS7_PS1_21rocsparse_index_base_20rocsparse_diag_type_
                                        ; -- End function
	.set _ZN9rocsparseL27csrsv_analysis_lower_kernelILj1024ELj64ELb0EiiEEvT3_PKT2_PKS1_PS2_PiS7_PS1_21rocsparse_index_base_20rocsparse_diag_type_.num_vgpr, 14
	.set _ZN9rocsparseL27csrsv_analysis_lower_kernelILj1024ELj64ELb0EiiEEvT3_PKT2_PKS1_PS2_PiS7_PS1_21rocsparse_index_base_20rocsparse_diag_type_.num_agpr, 0
	.set _ZN9rocsparseL27csrsv_analysis_lower_kernelILj1024ELj64ELb0EiiEEvT3_PKT2_PKS1_PS2_PiS7_PS1_21rocsparse_index_base_20rocsparse_diag_type_.numbered_sgpr, 19
	.set _ZN9rocsparseL27csrsv_analysis_lower_kernelILj1024ELj64ELb0EiiEEvT3_PKT2_PKS1_PS2_PiS7_PS1_21rocsparse_index_base_20rocsparse_diag_type_.num_named_barrier, 0
	.set _ZN9rocsparseL27csrsv_analysis_lower_kernelILj1024ELj64ELb0EiiEEvT3_PKT2_PKS1_PS2_PiS7_PS1_21rocsparse_index_base_20rocsparse_diag_type_.private_seg_size, 0
	.set _ZN9rocsparseL27csrsv_analysis_lower_kernelILj1024ELj64ELb0EiiEEvT3_PKT2_PKS1_PS2_PiS7_PS1_21rocsparse_index_base_20rocsparse_diag_type_.uses_vcc, 1
	.set _ZN9rocsparseL27csrsv_analysis_lower_kernelILj1024ELj64ELb0EiiEEvT3_PKT2_PKS1_PS2_PiS7_PS1_21rocsparse_index_base_20rocsparse_diag_type_.uses_flat_scratch, 0
	.set _ZN9rocsparseL27csrsv_analysis_lower_kernelILj1024ELj64ELb0EiiEEvT3_PKT2_PKS1_PS2_PiS7_PS1_21rocsparse_index_base_20rocsparse_diag_type_.has_dyn_sized_stack, 0
	.set _ZN9rocsparseL27csrsv_analysis_lower_kernelILj1024ELj64ELb0EiiEEvT3_PKT2_PKS1_PS2_PiS7_PS1_21rocsparse_index_base_20rocsparse_diag_type_.has_recursion, 0
	.set _ZN9rocsparseL27csrsv_analysis_lower_kernelILj1024ELj64ELb0EiiEEvT3_PKT2_PKS1_PS2_PiS7_PS1_21rocsparse_index_base_20rocsparse_diag_type_.has_indirect_call, 0
	.section	.AMDGPU.csdata,"",@progbits
; Kernel info:
; codeLenInByte = 1268
; TotalNumSgprs: 21
; NumVgprs: 14
; ScratchSize: 0
; MemoryBound: 0
; FloatMode: 240
; IeeeMode: 1
; LDSByteSize: 64 bytes/workgroup (compile time only)
; SGPRBlocks: 0
; VGPRBlocks: 0
; NumSGPRsForWavesPerEU: 21
; NumVGPRsForWavesPerEU: 14
; NamedBarCnt: 0
; Occupancy: 16
; WaveLimiterHint : 1
; COMPUTE_PGM_RSRC2:SCRATCH_EN: 0
; COMPUTE_PGM_RSRC2:USER_SGPR: 2
; COMPUTE_PGM_RSRC2:TRAP_HANDLER: 0
; COMPUTE_PGM_RSRC2:TGID_X_EN: 1
; COMPUTE_PGM_RSRC2:TGID_Y_EN: 0
; COMPUTE_PGM_RSRC2:TGID_Z_EN: 0
; COMPUTE_PGM_RSRC2:TIDIG_COMP_CNT: 0
	.section	.text._ZN9rocsparseL27csrsv_analysis_upper_kernelILj1024ELj64ELb1EliEEvT3_PKT2_PKS1_PS2_PiS7_PS1_21rocsparse_index_base_20rocsparse_diag_type_,"axG",@progbits,_ZN9rocsparseL27csrsv_analysis_upper_kernelILj1024ELj64ELb1EliEEvT3_PKT2_PKS1_PS2_PiS7_PS1_21rocsparse_index_base_20rocsparse_diag_type_,comdat
	.globl	_ZN9rocsparseL27csrsv_analysis_upper_kernelILj1024ELj64ELb1EliEEvT3_PKT2_PKS1_PS2_PiS7_PS1_21rocsparse_index_base_20rocsparse_diag_type_ ; -- Begin function _ZN9rocsparseL27csrsv_analysis_upper_kernelILj1024ELj64ELb1EliEEvT3_PKT2_PKS1_PS2_PiS7_PS1_21rocsparse_index_base_20rocsparse_diag_type_
	.p2align	8
	.type	_ZN9rocsparseL27csrsv_analysis_upper_kernelILj1024ELj64ELb1EliEEvT3_PKT2_PKS1_PS2_PiS7_PS1_21rocsparse_index_base_20rocsparse_diag_type_,@function
_ZN9rocsparseL27csrsv_analysis_upper_kernelILj1024ELj64ELb1EliEEvT3_PKT2_PKS1_PS2_PiS7_PS1_21rocsparse_index_base_20rocsparse_diag_type_: ; @_ZN9rocsparseL27csrsv_analysis_upper_kernelILj1024ELj64ELb1EliEEvT3_PKT2_PKS1_PS2_PiS7_PS1_21rocsparse_index_base_20rocsparse_diag_type_
; %bb.0:
	s_load_b32 s14, s[0:1], 0x0
	s_bfe_u32 s2, ttmp6, 0x4000c
	s_and_b32 s3, ttmp6, 15
	s_add_co_i32 s2, s2, 1
	s_getreg_b32 s4, hwreg(HW_REG_IB_STS2, 6, 4)
	s_mul_i32 s2, ttmp9, s2
	v_dual_lshrrev_b32 v1, 6, v0 :: v_dual_mov_b32 v9, 0
	s_add_co_i32 s3, s3, s2
	s_cmp_eq_u32 s4, 0
	s_cselect_b32 s2, ttmp9, s3
	s_delay_alu instid0(SALU_CYCLE_1) | instskip(NEXT) | instid1(SALU_CYCLE_1)
	s_lshl_b32 s15, s2, 4
	s_not_b32 s2, s15
	s_wait_kmcnt 0x0
	s_add_co_i32 s16, s14, s2
	s_delay_alu instid0(SALU_CYCLE_1)
	v_dual_lshlrev_b32 v14, 2, v1 :: v_dual_sub_nc_u32 v2, s16, v1
	s_mov_b32 s2, exec_lo
	ds_store_b32 v14, v9
	s_wait_dscnt 0x0
	s_barrier_signal -1
	s_barrier_wait -1
	v_cmpx_lt_i32_e32 -1, v2
	s_cbranch_execz .LBB6_37
; %bb.1:
	s_clause 0x1
	s_load_b64 s[4:5], s[0:1], 0x18
	s_load_b64 s[2:3], s[0:1], 0x8
	v_dual_mov_b32 v3, v9 :: v_dual_bitop2_b32 v15, 63, v0 bitop3:0x40
	s_wait_kmcnt 0x0
	s_delay_alu instid0(VALU_DEP_1) | instskip(SKIP_1) | instid1(VALU_DEP_2)
	v_lshl_add_u64 v[0:1], v[2:3], 3, s[4:5]
	s_mov_b32 s4, exec_lo
	v_cmpx_eq_u32_e32 0, v15
	s_cbranch_execz .LBB6_3
; %bb.2:
	v_mov_b64_e32 v[4:5], -1
	global_store_b64 v[0:1], v[4:5], off
.LBB6_3:
	s_wait_xcnt 0x0
	s_or_b32 exec_lo, exec_lo, s4
	v_lshl_add_u64 v[4:5], v[2:3], 3, s[2:3]
	s_load_b256 s[4:11], s[0:1], 0x20
	v_not_b32_e32 v16, v15
	s_mov_b32 s3, 0
	global_load_b128 v[10:13], v[4:5], off
	v_ashrrev_i32_e32 v17, 31, v16
	s_wait_kmcnt 0x0
	s_mov_b32 s2, s10
	s_wait_loadcnt 0x0
	v_sub_nc_u64_e64 v[4:5], v[12:13], s[2:3]
	v_sub_nc_u64_e64 v[6:7], v[10:11], s[2:3]
	s_mov_b32 s2, exec_lo
	s_delay_alu instid0(VALU_DEP_2) | instskip(NEXT) | instid1(VALU_DEP_1)
	v_add_nc_u64_e32 v[12:13], v[4:5], v[16:17]
	v_cmpx_ge_i64_e64 v[12:13], v[6:7]
	s_cbranch_execz .LBB6_27
; %bb.4:
	s_load_b64 s[0:1], s[0:1], 0x10
	v_mov_b32_e32 v9, 0
	s_mov_b64 s[12:13], 0xffffffffffffffc0
                                        ; implicit-def: $sgpr17
                                        ; implicit-def: $sgpr19
                                        ; implicit-def: $sgpr18
	s_branch .LBB6_8
.LBB6_5:                                ;   in Loop: Header=BB6_8 Depth=1
	s_or_b32 exec_lo, exec_lo, s22
.LBB6_6:                                ;   in Loop: Header=BB6_8 Depth=1
	s_delay_alu instid0(SALU_CYCLE_1) | instskip(SKIP_4) | instid1(VALU_DEP_2)
	s_or_b32 exec_lo, exec_lo, s21
	v_add_nc_u64_e32 v[12:13], s[12:13], v[10:11]
	v_max_i32_e32 v9, v9, v16
	s_and_not1_b32 s19, s19, exec_lo
	s_and_not1_b32 s18, s18, exec_lo
	v_cmp_lt_i64_e32 vcc_lo, v[12:13], v[6:7]
	s_and_b32 s21, vcc_lo, exec_lo
	s_delay_alu instid0(SALU_CYCLE_1)
	s_or_b32 s19, s19, s21
.LBB6_7:                                ;   in Loop: Header=BB6_8 Depth=1
	s_or_b32 exec_lo, exec_lo, s20
	s_delay_alu instid0(SALU_CYCLE_1) | instskip(NEXT) | instid1(SALU_CYCLE_1)
	s_and_b32 s20, exec_lo, s19
	s_or_b32 s3, s20, s3
	s_and_not1_b32 s17, s17, exec_lo
	s_and_b32 s20, s18, exec_lo
	s_delay_alu instid0(SALU_CYCLE_1)
	s_or_b32 s17, s17, s20
	s_and_not1_b32 exec_lo, exec_lo, s3
	s_cbranch_execz .LBB6_14
.LBB6_8:                                ; =>This Loop Header: Depth=1
                                        ;     Child Loop BB6_12 Depth 2
                                        ;       Child Loop BB6_13 Depth 3
	v_mov_b64_e32 v[10:11], v[12:13]
	s_delay_alu instid0(VALU_DEP_2) | instskip(SKIP_4) | instid1(VALU_DEP_2)
	v_mov_b32_e32 v16, v9
	s_or_b32 s18, s18, exec_lo
	s_or_b32 s19, s19, exec_lo
	s_mov_b32 s20, exec_lo
                                        ; implicit-def: $vgpr9
	s_wait_kmcnt 0x0
	v_lshl_add_u64 v[12:13], v[10:11], 2, s[0:1]
	global_load_b32 v8, v[12:13], off th:TH_LOAD_NT
                                        ; implicit-def: $vgpr12_vgpr13
	s_wait_loadcnt 0x0
	v_subrev_nc_u32_e32 v8, s10, v8
	s_wait_xcnt 0x0
	s_delay_alu instid0(VALU_DEP_1)
	v_cmpx_lt_i32_e64 s16, v8
	s_cbranch_execz .LBB6_7
; %bb.9:                                ;   in Loop: Header=BB6_8 Depth=1
	global_load_b32 v9, v8, s[4:5] scale_offset scope:SCOPE_DEV
	s_mov_b32 s21, exec_lo
	s_wait_loadcnt 0x0
	v_cmpx_eq_u32_e32 0, v9
	s_cbranch_execz .LBB6_6
; %bb.10:                               ;   in Loop: Header=BB6_8 Depth=1
	v_ashrrev_i32_e32 v9, 31, v8
	s_mov_b32 s22, 0
	s_mov_b32 s23, 0
	s_delay_alu instid0(VALU_DEP_1)
	v_lshl_add_u64 v[12:13], v[8:9], 2, s[4:5]
	s_branch .LBB6_12
.LBB6_11:                               ;   in Loop: Header=BB6_12 Depth=2
	global_load_b32 v9, v[12:13], off scope:SCOPE_DEV
	s_cmp_lt_u32 s23, 0xf43
	s_cselect_b32 s24, -1, 0
	s_delay_alu instid0(SALU_CYCLE_1)
	s_cmp_lg_u32 s24, 0
	s_add_co_ci_u32 s23, s23, 0
	s_wait_loadcnt 0x0
	v_cmp_ne_u32_e32 vcc_lo, 0, v9
	s_or_b32 s22, vcc_lo, s22
	s_wait_xcnt 0x0
	s_and_not1_b32 exec_lo, exec_lo, s22
	s_cbranch_execz .LBB6_5
.LBB6_12:                               ;   Parent Loop BB6_8 Depth=1
                                        ; =>  This Loop Header: Depth=2
                                        ;       Child Loop BB6_13 Depth 3
	s_cmp_eq_u32 s23, 0
	s_mov_b32 s24, s23
	s_cbranch_scc1 .LBB6_11
.LBB6_13:                               ;   Parent Loop BB6_8 Depth=1
                                        ;     Parent Loop BB6_12 Depth=2
                                        ; =>    This Inner Loop Header: Depth=3
	s_add_co_i32 s24, s24, -1
	s_sleep 1
	s_cmp_eq_u32 s24, 0
	s_cbranch_scc0 .LBB6_13
	s_branch .LBB6_11
.LBB6_14:
	s_or_b32 exec_lo, exec_lo, s3
	s_and_saveexec_b32 s0, s17
	s_delay_alu instid0(SALU_CYCLE_1)
	s_xor_b32 s0, exec_lo, s0
	s_cbranch_execz .LBB6_26
; %bb.15:
	s_mov_b32 s1, exec_lo
	v_cmpx_eq_u32_e64 v8, v2
	s_cbranch_execz .LBB6_17
; %bb.16:
	global_store_b64 v[0:1], v[10:11], off
.LBB6_17:
	s_wait_xcnt 0x0
	s_or_b32 exec_lo, exec_lo, s1
	s_delay_alu instid0(SALU_CYCLE_1)
	s_mov_b32 s1, exec_lo
	v_cmpx_gt_i32_e64 v8, v2
	s_cbranch_execz .LBB6_25
; %bb.18:
	s_xor_b32 s3, s15, 0x3ffffff0
	s_mov_b32 s12, 0
	s_add_co_i32 s14, s14, s3
	s_mov_b32 s3, exec_lo
	v_sub_nc_u32_e32 v8, s14, v8
	s_delay_alu instid0(VALU_DEP_1)
	v_lshlrev_b32_e32 v8, 2, v8
	ds_load_b32 v9, v8 offset:60
	s_wait_dscnt 0x0
	v_cmpx_eq_u32_e32 0, v9
	s_cbranch_execz .LBB6_24
; %bb.19:
	s_mov_b32 s13, 0
	s_branch .LBB6_21
.LBB6_20:                               ;   in Loop: Header=BB6_21 Depth=1
	ds_load_b32 v9, v8 offset:60
	s_cmp_lt_u32 s13, 0xf43
	s_cselect_b32 s14, -1, 0
	s_delay_alu instid0(SALU_CYCLE_1) | instskip(SKIP_4) | instid1(SALU_CYCLE_1)
	s_cmp_lg_u32 s14, 0
	s_add_co_ci_u32 s13, s13, 0
	s_wait_dscnt 0x0
	v_cmp_ne_u32_e32 vcc_lo, 0, v9
	s_or_b32 s12, vcc_lo, s12
	s_and_not1_b32 exec_lo, exec_lo, s12
	s_cbranch_execz .LBB6_23
.LBB6_21:                               ; =>This Loop Header: Depth=1
                                        ;     Child Loop BB6_22 Depth 2
	s_cmp_eq_u32 s13, 0
	s_mov_b32 s14, s13
	s_cbranch_scc1 .LBB6_20
.LBB6_22:                               ;   Parent Loop BB6_21 Depth=1
                                        ; =>  This Inner Loop Header: Depth=2
	s_add_co_i32 s14, s14, -1
	s_sleep 1
	s_cmp_eq_u32 s14, 0
	s_cbranch_scc0 .LBB6_22
	s_branch .LBB6_20
.LBB6_23:
	s_or_b32 exec_lo, exec_lo, s12
.LBB6_24:
	s_delay_alu instid0(SALU_CYCLE_1)
	s_or_b32 exec_lo, exec_lo, s3
	v_max_i32_e32 v16, v9, v16
.LBB6_25:
	s_or_b32 exec_lo, exec_lo, s1
	s_delay_alu instid0(VALU_DEP_1)
	v_mov_b32_e32 v9, v16
.LBB6_26:
	s_or_b32 exec_lo, exec_lo, s0
.LBB6_27:
	s_delay_alu instid0(SALU_CYCLE_1) | instskip(SKIP_2) | instid1(VALU_DEP_1)
	s_or_b32 exec_lo, exec_lo, s2
	v_mbcnt_lo_u32_b32 v8, -1, 0
	s_wait_storecnt 0x0
	v_xor_b32_e32 v11, 16, v8
	v_or_b32_e32 v10, 32, v8
	s_delay_alu instid0(VALU_DEP_1) | instskip(SKIP_1) | instid1(VALU_DEP_4)
	v_cmp_gt_i32_e32 vcc_lo, 32, v10
	v_cndmask_b32_e32 v10, v8, v10, vcc_lo
	v_cmp_gt_i32_e32 vcc_lo, 32, v11
	v_cndmask_b32_e32 v11, v8, v11, vcc_lo
	s_delay_alu instid0(VALU_DEP_1)
	v_dual_lshlrev_b32 v11, 2, v11 :: v_dual_lshlrev_b32 v10, 2, v10
	ds_bpermute_b32 v10, v10, v9
	s_wait_dscnt 0x0
	v_max_i32_e32 v9, v9, v10
	ds_bpermute_b32 v10, v11, v9
	v_xor_b32_e32 v11, 8, v8
	s_delay_alu instid0(VALU_DEP_1) | instskip(SKIP_2) | instid1(VALU_DEP_1)
	v_cmp_gt_i32_e32 vcc_lo, 32, v11
	v_cndmask_b32_e32 v11, v8, v11, vcc_lo
	s_wait_dscnt 0x0
	v_dual_lshlrev_b32 v11, 2, v11 :: v_dual_max_i32 v9, v9, v10
	ds_bpermute_b32 v10, v11, v9
	v_xor_b32_e32 v11, 4, v8
	s_delay_alu instid0(VALU_DEP_1) | instskip(SKIP_2) | instid1(VALU_DEP_1)
	v_cmp_gt_i32_e32 vcc_lo, 32, v11
	s_wait_dscnt 0x0
	v_dual_cndmask_b32 v11, v8, v11, vcc_lo :: v_dual_max_i32 v9, v9, v10
	v_lshlrev_b32_e32 v11, 2, v11
	ds_bpermute_b32 v10, v11, v9
	v_xor_b32_e32 v11, 2, v8
	s_delay_alu instid0(VALU_DEP_1) | instskip(SKIP_2) | instid1(VALU_DEP_1)
	v_cmp_gt_i32_e32 vcc_lo, 32, v11
	s_wait_dscnt 0x0
	v_dual_cndmask_b32 v11, v8, v11, vcc_lo :: v_dual_max_i32 v9, v9, v10
	v_lshlrev_b32_e32 v11, 2, v11
	ds_bpermute_b32 v10, v11, v9
	v_xor_b32_e32 v11, 1, v8
	s_delay_alu instid0(VALU_DEP_1) | instskip(SKIP_3) | instid1(VALU_DEP_2)
	v_cmp_gt_i32_e32 vcc_lo, 32, v11
	v_cndmask_b32_e32 v11, v8, v11, vcc_lo
	v_cmp_eq_u32_e32 vcc_lo, 63, v15
	s_wait_dscnt 0x0
	v_dual_lshlrev_b32 v9, 2, v11 :: v_dual_max_i32 v8, v9, v10
	ds_bpermute_b32 v9, v9, v8
	s_and_b32 exec_lo, exec_lo, vcc_lo
	s_cbranch_execz .LBB6_37
; %bb.28:
	s_wait_dscnt 0x0
	v_max_i32_e32 v8, v8, v9
	v_sub_nc_u64_e32 v[6:7], v[4:5], v[6:7]
	v_mov_b64_e32 v[4:5], 0
	s_mov_b32 s0, exec_lo
	s_delay_alu instid0(VALU_DEP_3)
	v_add_nc_u32_e32 v10, 1, v8
	v_lshl_add_u64 v[8:9], v[2:3], 2, s[4:5]
	ds_store_b32 v14, v10
	global_store_b32 v[8:9], v10, off scope:SCOPE_DEV
.LBB6_29:                               ; =>This Inner Loop Header: Depth=1
	s_ctz_i32_b32 s1, s0
	s_delay_alu instid0(SALU_CYCLE_1) | instskip(SKIP_2) | instid1(SALU_CYCLE_1)
	v_readlane_b32 s3, v7, s1
	v_readlane_b32 s2, v6, s1
	s_lshl_b32 s1, 1, s1
	s_and_not1_b32 s0, s0, s1
	v_max_u64 v[4:5], v[4:5], s[2:3]
	s_cmp_lg_u32 s0, 0
	s_cbranch_scc1 .LBB6_29
; %bb.30:
	v_mbcnt_lo_u32_b32 v3, exec_lo, 0
	s_mov_b32 s0, exec_lo
	s_wait_xcnt 0x0
	s_delay_alu instid0(VALU_DEP_1)
	v_cmpx_eq_u32_e32 0, v3
	s_xor_b32 s0, exec_lo, s0
	s_cbranch_execz .LBB6_32
; %bb.31:
	v_mov_b32_e32 v3, 0
	global_atomic_max_u64 v3, v[4:5], s[6:7] scope:SCOPE_DEV
.LBB6_32:
	s_wait_xcnt 0x0
	s_or_b32 exec_lo, exec_lo, s0
	global_load_b64 v[0:1], v[0:1], off
	s_cmp_eq_u32 s11, 0
	s_cselect_b32 s0, -1, 0
	s_wait_loadcnt 0x0
	v_cmp_eq_u64_e32 vcc_lo, -1, v[0:1]
	s_and_b32 s0, s0, vcc_lo
	s_wait_xcnt 0x0
	s_and_b32 exec_lo, exec_lo, s0
	s_cbranch_execz .LBB6_37
; %bb.33:
	v_add_nc_u32_e32 v0, s10, v2
	s_mov_b32 s1, exec_lo
	s_brev_b32 s0, -2
.LBB6_34:                               ; =>This Inner Loop Header: Depth=1
	s_ctz_i32_b32 s2, s1
	s_delay_alu instid0(VALU_DEP_1) | instid1(SALU_CYCLE_1)
	v_readlane_b32 s3, v0, s2
	s_lshl_b32 s2, 1, s2
	s_delay_alu instid0(SALU_CYCLE_1)
	s_and_not1_b32 s1, s1, s2
	s_min_i32 s0, s0, s3
	s_cmp_lg_u32 s1, 0
	s_cbranch_scc1 .LBB6_34
; %bb.35:
	v_mbcnt_lo_u32_b32 v0, exec_lo, 0
	s_mov_b32 s1, exec_lo
	s_delay_alu instid0(VALU_DEP_1)
	v_cmpx_eq_u32_e32 0, v0
	s_xor_b32 s1, exec_lo, s1
	s_cbranch_execz .LBB6_37
; %bb.36:
	v_dual_mov_b32 v0, 0 :: v_dual_mov_b32 v1, s0
	global_atomic_min_i32 v0, v1, s[8:9] scope:SCOPE_DEV
.LBB6_37:
	s_endpgm
	.section	.rodata,"a",@progbits
	.p2align	6, 0x0
	.amdhsa_kernel _ZN9rocsparseL27csrsv_analysis_upper_kernelILj1024ELj64ELb1EliEEvT3_PKT2_PKS1_PS2_PiS7_PS1_21rocsparse_index_base_20rocsparse_diag_type_
		.amdhsa_group_segment_fixed_size 64
		.amdhsa_private_segment_fixed_size 0
		.amdhsa_kernarg_size 64
		.amdhsa_user_sgpr_count 2
		.amdhsa_user_sgpr_dispatch_ptr 0
		.amdhsa_user_sgpr_queue_ptr 0
		.amdhsa_user_sgpr_kernarg_segment_ptr 1
		.amdhsa_user_sgpr_dispatch_id 0
		.amdhsa_user_sgpr_kernarg_preload_length 0
		.amdhsa_user_sgpr_kernarg_preload_offset 0
		.amdhsa_user_sgpr_private_segment_size 0
		.amdhsa_wavefront_size32 1
		.amdhsa_uses_dynamic_stack 0
		.amdhsa_enable_private_segment 0
		.amdhsa_system_sgpr_workgroup_id_x 1
		.amdhsa_system_sgpr_workgroup_id_y 0
		.amdhsa_system_sgpr_workgroup_id_z 0
		.amdhsa_system_sgpr_workgroup_info 0
		.amdhsa_system_vgpr_workitem_id 0
		.amdhsa_next_free_vgpr 18
		.amdhsa_next_free_sgpr 25
		.amdhsa_named_barrier_count 0
		.amdhsa_reserve_vcc 1
		.amdhsa_float_round_mode_32 0
		.amdhsa_float_round_mode_16_64 0
		.amdhsa_float_denorm_mode_32 3
		.amdhsa_float_denorm_mode_16_64 3
		.amdhsa_fp16_overflow 0
		.amdhsa_memory_ordered 1
		.amdhsa_forward_progress 1
		.amdhsa_inst_pref_size 12
		.amdhsa_round_robin_scheduling 0
		.amdhsa_exception_fp_ieee_invalid_op 0
		.amdhsa_exception_fp_denorm_src 0
		.amdhsa_exception_fp_ieee_div_zero 0
		.amdhsa_exception_fp_ieee_overflow 0
		.amdhsa_exception_fp_ieee_underflow 0
		.amdhsa_exception_fp_ieee_inexact 0
		.amdhsa_exception_int_div_zero 0
	.end_amdhsa_kernel
	.section	.text._ZN9rocsparseL27csrsv_analysis_upper_kernelILj1024ELj64ELb1EliEEvT3_PKT2_PKS1_PS2_PiS7_PS1_21rocsparse_index_base_20rocsparse_diag_type_,"axG",@progbits,_ZN9rocsparseL27csrsv_analysis_upper_kernelILj1024ELj64ELb1EliEEvT3_PKT2_PKS1_PS2_PiS7_PS1_21rocsparse_index_base_20rocsparse_diag_type_,comdat
.Lfunc_end6:
	.size	_ZN9rocsparseL27csrsv_analysis_upper_kernelILj1024ELj64ELb1EliEEvT3_PKT2_PKS1_PS2_PiS7_PS1_21rocsparse_index_base_20rocsparse_diag_type_, .Lfunc_end6-_ZN9rocsparseL27csrsv_analysis_upper_kernelILj1024ELj64ELb1EliEEvT3_PKT2_PKS1_PS2_PiS7_PS1_21rocsparse_index_base_20rocsparse_diag_type_
                                        ; -- End function
	.set _ZN9rocsparseL27csrsv_analysis_upper_kernelILj1024ELj64ELb1EliEEvT3_PKT2_PKS1_PS2_PiS7_PS1_21rocsparse_index_base_20rocsparse_diag_type_.num_vgpr, 18
	.set _ZN9rocsparseL27csrsv_analysis_upper_kernelILj1024ELj64ELb1EliEEvT3_PKT2_PKS1_PS2_PiS7_PS1_21rocsparse_index_base_20rocsparse_diag_type_.num_agpr, 0
	.set _ZN9rocsparseL27csrsv_analysis_upper_kernelILj1024ELj64ELb1EliEEvT3_PKT2_PKS1_PS2_PiS7_PS1_21rocsparse_index_base_20rocsparse_diag_type_.numbered_sgpr, 25
	.set _ZN9rocsparseL27csrsv_analysis_upper_kernelILj1024ELj64ELb1EliEEvT3_PKT2_PKS1_PS2_PiS7_PS1_21rocsparse_index_base_20rocsparse_diag_type_.num_named_barrier, 0
	.set _ZN9rocsparseL27csrsv_analysis_upper_kernelILj1024ELj64ELb1EliEEvT3_PKT2_PKS1_PS2_PiS7_PS1_21rocsparse_index_base_20rocsparse_diag_type_.private_seg_size, 0
	.set _ZN9rocsparseL27csrsv_analysis_upper_kernelILj1024ELj64ELb1EliEEvT3_PKT2_PKS1_PS2_PiS7_PS1_21rocsparse_index_base_20rocsparse_diag_type_.uses_vcc, 1
	.set _ZN9rocsparseL27csrsv_analysis_upper_kernelILj1024ELj64ELb1EliEEvT3_PKT2_PKS1_PS2_PiS7_PS1_21rocsparse_index_base_20rocsparse_diag_type_.uses_flat_scratch, 0
	.set _ZN9rocsparseL27csrsv_analysis_upper_kernelILj1024ELj64ELb1EliEEvT3_PKT2_PKS1_PS2_PiS7_PS1_21rocsparse_index_base_20rocsparse_diag_type_.has_dyn_sized_stack, 0
	.set _ZN9rocsparseL27csrsv_analysis_upper_kernelILj1024ELj64ELb1EliEEvT3_PKT2_PKS1_PS2_PiS7_PS1_21rocsparse_index_base_20rocsparse_diag_type_.has_recursion, 0
	.set _ZN9rocsparseL27csrsv_analysis_upper_kernelILj1024ELj64ELb1EliEEvT3_PKT2_PKS1_PS2_PiS7_PS1_21rocsparse_index_base_20rocsparse_diag_type_.has_indirect_call, 0
	.section	.AMDGPU.csdata,"",@progbits
; Kernel info:
; codeLenInByte = 1452
; TotalNumSgprs: 27
; NumVgprs: 18
; ScratchSize: 0
; MemoryBound: 0
; FloatMode: 240
; IeeeMode: 1
; LDSByteSize: 64 bytes/workgroup (compile time only)
; SGPRBlocks: 0
; VGPRBlocks: 1
; NumSGPRsForWavesPerEU: 27
; NumVGPRsForWavesPerEU: 18
; NamedBarCnt: 0
; Occupancy: 16
; WaveLimiterHint : 1
; COMPUTE_PGM_RSRC2:SCRATCH_EN: 0
; COMPUTE_PGM_RSRC2:USER_SGPR: 2
; COMPUTE_PGM_RSRC2:TRAP_HANDLER: 0
; COMPUTE_PGM_RSRC2:TGID_X_EN: 1
; COMPUTE_PGM_RSRC2:TGID_Y_EN: 0
; COMPUTE_PGM_RSRC2:TGID_Z_EN: 0
; COMPUTE_PGM_RSRC2:TIDIG_COMP_CNT: 0
	.section	.text._ZN9rocsparseL27csrsv_analysis_lower_kernelILj1024ELj64ELb1EliEEvT3_PKT2_PKS1_PS2_PiS7_PS1_21rocsparse_index_base_20rocsparse_diag_type_,"axG",@progbits,_ZN9rocsparseL27csrsv_analysis_lower_kernelILj1024ELj64ELb1EliEEvT3_PKT2_PKS1_PS2_PiS7_PS1_21rocsparse_index_base_20rocsparse_diag_type_,comdat
	.globl	_ZN9rocsparseL27csrsv_analysis_lower_kernelILj1024ELj64ELb1EliEEvT3_PKT2_PKS1_PS2_PiS7_PS1_21rocsparse_index_base_20rocsparse_diag_type_ ; -- Begin function _ZN9rocsparseL27csrsv_analysis_lower_kernelILj1024ELj64ELb1EliEEvT3_PKT2_PKS1_PS2_PiS7_PS1_21rocsparse_index_base_20rocsparse_diag_type_
	.p2align	8
	.type	_ZN9rocsparseL27csrsv_analysis_lower_kernelILj1024ELj64ELb1EliEEvT3_PKT2_PKS1_PS2_PiS7_PS1_21rocsparse_index_base_20rocsparse_diag_type_,@function
_ZN9rocsparseL27csrsv_analysis_lower_kernelILj1024ELj64ELb1EliEEvT3_PKT2_PKS1_PS2_PiS7_PS1_21rocsparse_index_base_20rocsparse_diag_type_: ; @_ZN9rocsparseL27csrsv_analysis_lower_kernelILj1024ELj64ELb1EliEEvT3_PKT2_PKS1_PS2_PiS7_PS1_21rocsparse_index_base_20rocsparse_diag_type_
; %bb.0:
	s_load_b32 s2, s[0:1], 0x0
	s_bfe_u32 s3, ttmp6, 0x4000c
	s_and_b32 s4, ttmp6, 15
	s_add_co_i32 s3, s3, 1
	s_getreg_b32 s5, hwreg(HW_REG_IB_STS2, 6, 4)
	s_mul_i32 s3, ttmp9, s3
	v_dual_lshrrev_b32 v1, 6, v0 :: v_dual_mov_b32 v3, 0
	s_add_co_i32 s4, s4, s3
	s_cmp_eq_u32 s5, 0
	s_cselect_b32 s3, ttmp9, s4
	s_delay_alu instid0(SALU_CYCLE_1) | instskip(NEXT) | instid1(SALU_CYCLE_1)
	s_lshl_b32 s12, s3, 4
	v_dual_lshlrev_b32 v16, 2, v1 :: v_dual_bitop2_b32 v2, s12, v1 bitop3:0x54
	ds_store_b32 v16, v3
	s_wait_kmcnt 0x0
	v_cmp_gt_i32_e32 vcc_lo, s2, v2
	s_wait_dscnt 0x0
	s_barrier_signal -1
	s_barrier_wait -1
	s_and_saveexec_b32 s2, vcc_lo
	s_cbranch_execz .LBB7_37
; %bb.1:
	s_clause 0x1
	s_load_b64 s[4:5], s[0:1], 0x18
	s_load_b64 s[2:3], s[0:1], 0x8
	v_dual_ashrrev_i32 v3, 31, v2 :: v_dual_bitop2_b32 v4, 63, v0 bitop3:0x40
	s_wait_kmcnt 0x0
	s_delay_alu instid0(VALU_DEP_1) | instskip(SKIP_1) | instid1(VALU_DEP_2)
	v_lshl_add_u64 v[0:1], v[2:3], 3, s[4:5]
	s_mov_b32 s4, exec_lo
	v_cmpx_eq_u32_e32 0, v4
	s_cbranch_execz .LBB7_3
; %bb.2:
	v_mov_b64_e32 v[6:7], -1
	global_store_b64 v[0:1], v[6:7], off
.LBB7_3:
	s_wait_xcnt 0x0
	s_or_b32 exec_lo, exec_lo, s4
	v_lshl_add_u64 v[6:7], v[2:3], 3, s[2:3]
	s_load_b256 s[4:11], s[0:1], 0x20
	s_mov_b32 s3, 0
	v_mov_b32_e32 v5, 0
	global_load_b128 v[6:9], v[6:7], off
	s_wait_kmcnt 0x0
	s_mov_b32 s2, s10
	s_wait_loadcnt 0x0
	v_sub_nc_u64_e64 v[6:7], v[6:7], s[2:3]
	v_sub_nc_u64_e64 v[8:9], v[8:9], s[2:3]
	s_mov_b32 s2, exec_lo
	s_delay_alu instid0(VALU_DEP_2) | instskip(NEXT) | instid1(VALU_DEP_1)
	v_add_nc_u64_e32 v[14:15], v[6:7], v[4:5]
	v_cmpx_lt_i64_e64 v[14:15], v[8:9]
	s_cbranch_execz .LBB7_27
; %bb.4:
	s_load_b64 s[0:1], s[0:1], 0x10
	v_mov_b32_e32 v5, 0
                                        ; implicit-def: $sgpr13
                                        ; implicit-def: $sgpr15
                                        ; implicit-def: $sgpr14
	s_branch .LBB7_8
.LBB7_5:                                ;   in Loop: Header=BB7_8 Depth=1
	s_or_b32 exec_lo, exec_lo, s18
.LBB7_6:                                ;   in Loop: Header=BB7_8 Depth=1
	s_delay_alu instid0(SALU_CYCLE_1) | instskip(SKIP_4) | instid1(VALU_DEP_2)
	s_or_b32 exec_lo, exec_lo, s17
	v_add_nc_u64_e32 v[14:15], 64, v[12:13]
	v_max_i32_e32 v5, v5, v17
	s_and_not1_b32 s15, s15, exec_lo
	s_and_not1_b32 s14, s14, exec_lo
	v_cmp_ge_i64_e32 vcc_lo, v[14:15], v[8:9]
	s_and_b32 s17, vcc_lo, exec_lo
	s_delay_alu instid0(SALU_CYCLE_1)
	s_or_b32 s15, s15, s17
.LBB7_7:                                ;   in Loop: Header=BB7_8 Depth=1
	s_or_b32 exec_lo, exec_lo, s16
	s_delay_alu instid0(SALU_CYCLE_1) | instskip(NEXT) | instid1(SALU_CYCLE_1)
	s_and_b32 s16, exec_lo, s15
	s_or_b32 s3, s16, s3
	s_and_not1_b32 s13, s13, exec_lo
	s_and_b32 s16, s14, exec_lo
	s_delay_alu instid0(SALU_CYCLE_1)
	s_or_b32 s13, s13, s16
	s_and_not1_b32 exec_lo, exec_lo, s3
	s_cbranch_execz .LBB7_14
.LBB7_8:                                ; =>This Loop Header: Depth=1
                                        ;     Child Loop BB7_12 Depth 2
                                        ;       Child Loop BB7_13 Depth 3
	v_mov_b64_e32 v[12:13], v[14:15]
	s_delay_alu instid0(VALU_DEP_2) | instskip(SKIP_4) | instid1(VALU_DEP_2)
	v_mov_b32_e32 v17, v5
	s_or_b32 s14, s14, exec_lo
	s_or_b32 s15, s15, exec_lo
	s_mov_b32 s16, exec_lo
                                        ; implicit-def: $vgpr14_vgpr15
	s_wait_kmcnt 0x0
	v_lshl_add_u64 v[10:11], v[12:13], 2, s[0:1]
	global_load_b32 v10, v[10:11], off th:TH_LOAD_NT
	s_wait_loadcnt 0x0
	v_subrev_nc_u32_e32 v10, s10, v10
	s_delay_alu instid0(VALU_DEP_1)
	v_cmpx_gt_i32_e64 s12, v10
	s_cbranch_execz .LBB7_7
; %bb.9:                                ;   in Loop: Header=BB7_8 Depth=1
	global_load_b32 v5, v10, s[4:5] scale_offset scope:SCOPE_DEV
	s_mov_b32 s17, exec_lo
	s_wait_loadcnt 0x0
	v_cmpx_eq_u32_e32 0, v5
	s_cbranch_execz .LBB7_6
; %bb.10:                               ;   in Loop: Header=BB7_8 Depth=1
	v_ashrrev_i32_e32 v11, 31, v10
	s_mov_b32 s18, 0
	s_mov_b32 s19, 0
	s_delay_alu instid0(VALU_DEP_1)
	v_lshl_add_u64 v[14:15], v[10:11], 2, s[4:5]
	s_branch .LBB7_12
.LBB7_11:                               ;   in Loop: Header=BB7_12 Depth=2
	global_load_b32 v5, v[14:15], off scope:SCOPE_DEV
	s_cmp_lt_u32 s19, 0xf43
	s_cselect_b32 s20, -1, 0
	s_delay_alu instid0(SALU_CYCLE_1)
	s_cmp_lg_u32 s20, 0
	s_add_co_ci_u32 s19, s19, 0
	s_wait_loadcnt 0x0
	v_cmp_ne_u32_e32 vcc_lo, 0, v5
	s_or_b32 s18, vcc_lo, s18
	s_wait_xcnt 0x0
	s_and_not1_b32 exec_lo, exec_lo, s18
	s_cbranch_execz .LBB7_5
.LBB7_12:                               ;   Parent Loop BB7_8 Depth=1
                                        ; =>  This Loop Header: Depth=2
                                        ;       Child Loop BB7_13 Depth 3
	s_cmp_eq_u32 s19, 0
	s_mov_b32 s20, s19
	s_cbranch_scc1 .LBB7_11
.LBB7_13:                               ;   Parent Loop BB7_8 Depth=1
                                        ;     Parent Loop BB7_12 Depth=2
                                        ; =>    This Inner Loop Header: Depth=3
	s_add_co_i32 s20, s20, -1
	s_sleep 1
	s_cmp_eq_u32 s20, 0
	s_cbranch_scc0 .LBB7_13
	s_branch .LBB7_11
.LBB7_14:
	s_or_b32 exec_lo, exec_lo, s3
	s_and_saveexec_b32 s0, s13
	s_delay_alu instid0(SALU_CYCLE_1)
	s_xor_b32 s0, exec_lo, s0
	s_cbranch_execz .LBB7_26
; %bb.15:
	s_mov_b32 s1, exec_lo
	v_cmpx_eq_u32_e64 v10, v2
	s_cbranch_execz .LBB7_17
; %bb.16:
	global_store_b64 v[0:1], v[12:13], off
.LBB7_17:
	s_wait_xcnt 0x0
	s_or_b32 exec_lo, exec_lo, s1
	s_delay_alu instid0(SALU_CYCLE_1)
	s_mov_b32 s1, exec_lo
	v_cmpx_lt_i32_e64 v10, v2
	s_cbranch_execz .LBB7_25
; %bb.18:
	v_subrev_nc_u32_e32 v5, s12, v10
	s_mov_b32 s12, 0
	s_mov_b32 s3, exec_lo
	s_delay_alu instid0(VALU_DEP_1)
	v_lshlrev_b32_e32 v5, 2, v5
	ds_load_b32 v10, v5
	s_wait_dscnt 0x0
	v_cmpx_eq_u32_e32 0, v10
	s_cbranch_execz .LBB7_24
; %bb.19:
	s_mov_b32 s13, 0
	s_branch .LBB7_21
.LBB7_20:                               ;   in Loop: Header=BB7_21 Depth=1
	ds_load_b32 v10, v5
	s_cmp_lt_u32 s13, 0xf43
	s_cselect_b32 s14, -1, 0
	s_delay_alu instid0(SALU_CYCLE_1) | instskip(SKIP_4) | instid1(SALU_CYCLE_1)
	s_cmp_lg_u32 s14, 0
	s_add_co_ci_u32 s13, s13, 0
	s_wait_dscnt 0x0
	v_cmp_ne_u32_e32 vcc_lo, 0, v10
	s_or_b32 s12, vcc_lo, s12
	s_and_not1_b32 exec_lo, exec_lo, s12
	s_cbranch_execz .LBB7_23
.LBB7_21:                               ; =>This Loop Header: Depth=1
                                        ;     Child Loop BB7_22 Depth 2
	s_cmp_eq_u32 s13, 0
	s_mov_b32 s14, s13
	s_cbranch_scc1 .LBB7_20
.LBB7_22:                               ;   Parent Loop BB7_21 Depth=1
                                        ; =>  This Inner Loop Header: Depth=2
	s_add_co_i32 s14, s14, -1
	s_sleep 1
	s_cmp_eq_u32 s14, 0
	s_cbranch_scc0 .LBB7_22
	s_branch .LBB7_20
.LBB7_23:
	s_or_b32 exec_lo, exec_lo, s12
.LBB7_24:
	s_delay_alu instid0(SALU_CYCLE_1)
	s_or_b32 exec_lo, exec_lo, s3
	v_max_i32_e32 v17, v10, v17
.LBB7_25:
	s_or_b32 exec_lo, exec_lo, s1
	s_delay_alu instid0(VALU_DEP_1)
	v_mov_b32_e32 v5, v17
.LBB7_26:
	s_or_b32 exec_lo, exec_lo, s0
.LBB7_27:
	s_delay_alu instid0(SALU_CYCLE_1) | instskip(SKIP_2) | instid1(VALU_DEP_1)
	s_or_b32 exec_lo, exec_lo, s2
	v_mbcnt_lo_u32_b32 v10, -1, 0
	s_wait_storecnt 0x0
	v_xor_b32_e32 v12, 16, v10
	v_or_b32_e32 v11, 32, v10
	s_delay_alu instid0(VALU_DEP_1) | instskip(SKIP_1) | instid1(VALU_DEP_4)
	v_cmp_gt_i32_e32 vcc_lo, 32, v11
	v_cndmask_b32_e32 v11, v10, v11, vcc_lo
	v_cmp_gt_i32_e32 vcc_lo, 32, v12
	v_cndmask_b32_e32 v12, v10, v12, vcc_lo
	s_delay_alu instid0(VALU_DEP_1)
	v_dual_lshlrev_b32 v12, 2, v12 :: v_dual_lshlrev_b32 v11, 2, v11
	ds_bpermute_b32 v11, v11, v5
	s_wait_dscnt 0x0
	v_max_i32_e32 v5, v5, v11
	ds_bpermute_b32 v11, v12, v5
	v_xor_b32_e32 v12, 8, v10
	s_delay_alu instid0(VALU_DEP_1) | instskip(SKIP_2) | instid1(VALU_DEP_1)
	v_cmp_gt_i32_e32 vcc_lo, 32, v12
	v_cndmask_b32_e32 v12, v10, v12, vcc_lo
	s_wait_dscnt 0x0
	v_dual_lshlrev_b32 v12, 2, v12 :: v_dual_max_i32 v5, v5, v11
	ds_bpermute_b32 v11, v12, v5
	v_xor_b32_e32 v12, 4, v10
	s_delay_alu instid0(VALU_DEP_1) | instskip(SKIP_2) | instid1(VALU_DEP_1)
	v_cmp_gt_i32_e32 vcc_lo, 32, v12
	s_wait_dscnt 0x0
	v_dual_cndmask_b32 v12, v10, v12 :: v_dual_max_i32 v5, v5, v11
	v_lshlrev_b32_e32 v12, 2, v12
	ds_bpermute_b32 v11, v12, v5
	v_xor_b32_e32 v12, 2, v10
	s_delay_alu instid0(VALU_DEP_1) | instskip(SKIP_2) | instid1(VALU_DEP_1)
	v_cmp_gt_i32_e32 vcc_lo, 32, v12
	s_wait_dscnt 0x0
	v_dual_cndmask_b32 v12, v10, v12 :: v_dual_max_i32 v5, v5, v11
	v_lshlrev_b32_e32 v12, 2, v12
	ds_bpermute_b32 v11, v12, v5
	v_xor_b32_e32 v12, 1, v10
	s_delay_alu instid0(VALU_DEP_1) | instskip(SKIP_3) | instid1(VALU_DEP_2)
	v_cmp_gt_i32_e32 vcc_lo, 32, v12
	v_cndmask_b32_e32 v10, v10, v12, vcc_lo
	v_cmp_eq_u32_e32 vcc_lo, 63, v4
	s_wait_dscnt 0x0
	v_dual_lshlrev_b32 v10, 2, v10 :: v_dual_max_i32 v5, v5, v11
	ds_bpermute_b32 v10, v10, v5
	s_and_b32 exec_lo, exec_lo, vcc_lo
	s_cbranch_execz .LBB7_37
; %bb.28:
	s_wait_dscnt 0x0
	v_max_i32_e32 v10, v5, v10
	v_sub_nc_u64_e32 v[6:7], v[8:9], v[6:7]
	v_mov_b64_e32 v[4:5], 0
	v_lshl_add_u64 v[8:9], v[2:3], 2, s[4:5]
	s_mov_b32 s0, exec_lo
	v_add_nc_u32_e32 v10, 1, v10
	ds_store_b32 v16, v10
	global_store_b32 v[8:9], v10, off scope:SCOPE_DEV
.LBB7_29:                               ; =>This Inner Loop Header: Depth=1
	s_ctz_i32_b32 s1, s0
	s_delay_alu instid0(SALU_CYCLE_1) | instskip(SKIP_2) | instid1(SALU_CYCLE_1)
	v_readlane_b32 s3, v7, s1
	v_readlane_b32 s2, v6, s1
	s_lshl_b32 s1, 1, s1
	s_and_not1_b32 s0, s0, s1
	v_max_u64 v[4:5], v[4:5], s[2:3]
	s_cmp_lg_u32 s0, 0
	s_cbranch_scc1 .LBB7_29
; %bb.30:
	v_mbcnt_lo_u32_b32 v3, exec_lo, 0
	s_mov_b32 s0, exec_lo
	s_wait_xcnt 0x0
	s_delay_alu instid0(VALU_DEP_1)
	v_cmpx_eq_u32_e32 0, v3
	s_xor_b32 s0, exec_lo, s0
	s_cbranch_execz .LBB7_32
; %bb.31:
	v_mov_b32_e32 v3, 0
	global_atomic_max_u64 v3, v[4:5], s[6:7] scope:SCOPE_DEV
.LBB7_32:
	s_wait_xcnt 0x0
	s_or_b32 exec_lo, exec_lo, s0
	global_load_b64 v[0:1], v[0:1], off
	s_cmp_eq_u32 s11, 0
	s_cselect_b32 s0, -1, 0
	s_wait_loadcnt 0x0
	v_cmp_eq_u64_e32 vcc_lo, -1, v[0:1]
	s_and_b32 s0, s0, vcc_lo
	s_wait_xcnt 0x0
	s_and_b32 exec_lo, exec_lo, s0
	s_cbranch_execz .LBB7_37
; %bb.33:
	v_add_nc_u32_e32 v0, s10, v2
	s_mov_b32 s1, exec_lo
	s_brev_b32 s0, -2
.LBB7_34:                               ; =>This Inner Loop Header: Depth=1
	s_ctz_i32_b32 s2, s1
	s_delay_alu instid0(VALU_DEP_1) | instid1(SALU_CYCLE_1)
	v_readlane_b32 s3, v0, s2
	s_lshl_b32 s2, 1, s2
	s_delay_alu instid0(SALU_CYCLE_1)
	s_and_not1_b32 s1, s1, s2
	s_min_i32 s0, s0, s3
	s_cmp_lg_u32 s1, 0
	s_cbranch_scc1 .LBB7_34
; %bb.35:
	v_mbcnt_lo_u32_b32 v0, exec_lo, 0
	s_mov_b32 s1, exec_lo
	s_delay_alu instid0(VALU_DEP_1)
	v_cmpx_eq_u32_e32 0, v0
	s_xor_b32 s1, exec_lo, s1
	s_cbranch_execz .LBB7_37
; %bb.36:
	v_dual_mov_b32 v0, 0 :: v_dual_mov_b32 v1, s0
	global_atomic_min_i32 v0, v1, s[8:9] scope:SCOPE_DEV
.LBB7_37:
	s_endpgm
	.section	.rodata,"a",@progbits
	.p2align	6, 0x0
	.amdhsa_kernel _ZN9rocsparseL27csrsv_analysis_lower_kernelILj1024ELj64ELb1EliEEvT3_PKT2_PKS1_PS2_PiS7_PS1_21rocsparse_index_base_20rocsparse_diag_type_
		.amdhsa_group_segment_fixed_size 64
		.amdhsa_private_segment_fixed_size 0
		.amdhsa_kernarg_size 64
		.amdhsa_user_sgpr_count 2
		.amdhsa_user_sgpr_dispatch_ptr 0
		.amdhsa_user_sgpr_queue_ptr 0
		.amdhsa_user_sgpr_kernarg_segment_ptr 1
		.amdhsa_user_sgpr_dispatch_id 0
		.amdhsa_user_sgpr_kernarg_preload_length 0
		.amdhsa_user_sgpr_kernarg_preload_offset 0
		.amdhsa_user_sgpr_private_segment_size 0
		.amdhsa_wavefront_size32 1
		.amdhsa_uses_dynamic_stack 0
		.amdhsa_enable_private_segment 0
		.amdhsa_system_sgpr_workgroup_id_x 1
		.amdhsa_system_sgpr_workgroup_id_y 0
		.amdhsa_system_sgpr_workgroup_id_z 0
		.amdhsa_system_sgpr_workgroup_info 0
		.amdhsa_system_vgpr_workitem_id 0
		.amdhsa_next_free_vgpr 18
		.amdhsa_next_free_sgpr 21
		.amdhsa_named_barrier_count 0
		.amdhsa_reserve_vcc 1
		.amdhsa_float_round_mode_32 0
		.amdhsa_float_round_mode_16_64 0
		.amdhsa_float_denorm_mode_32 3
		.amdhsa_float_denorm_mode_16_64 3
		.amdhsa_fp16_overflow 0
		.amdhsa_memory_ordered 1
		.amdhsa_forward_progress 1
		.amdhsa_inst_pref_size 11
		.amdhsa_round_robin_scheduling 0
		.amdhsa_exception_fp_ieee_invalid_op 0
		.amdhsa_exception_fp_denorm_src 0
		.amdhsa_exception_fp_ieee_div_zero 0
		.amdhsa_exception_fp_ieee_overflow 0
		.amdhsa_exception_fp_ieee_underflow 0
		.amdhsa_exception_fp_ieee_inexact 0
		.amdhsa_exception_int_div_zero 0
	.end_amdhsa_kernel
	.section	.text._ZN9rocsparseL27csrsv_analysis_lower_kernelILj1024ELj64ELb1EliEEvT3_PKT2_PKS1_PS2_PiS7_PS1_21rocsparse_index_base_20rocsparse_diag_type_,"axG",@progbits,_ZN9rocsparseL27csrsv_analysis_lower_kernelILj1024ELj64ELb1EliEEvT3_PKT2_PKS1_PS2_PiS7_PS1_21rocsparse_index_base_20rocsparse_diag_type_,comdat
.Lfunc_end7:
	.size	_ZN9rocsparseL27csrsv_analysis_lower_kernelILj1024ELj64ELb1EliEEvT3_PKT2_PKS1_PS2_PiS7_PS1_21rocsparse_index_base_20rocsparse_diag_type_, .Lfunc_end7-_ZN9rocsparseL27csrsv_analysis_lower_kernelILj1024ELj64ELb1EliEEvT3_PKT2_PKS1_PS2_PiS7_PS1_21rocsparse_index_base_20rocsparse_diag_type_
                                        ; -- End function
	.set _ZN9rocsparseL27csrsv_analysis_lower_kernelILj1024ELj64ELb1EliEEvT3_PKT2_PKS1_PS2_PiS7_PS1_21rocsparse_index_base_20rocsparse_diag_type_.num_vgpr, 18
	.set _ZN9rocsparseL27csrsv_analysis_lower_kernelILj1024ELj64ELb1EliEEvT3_PKT2_PKS1_PS2_PiS7_PS1_21rocsparse_index_base_20rocsparse_diag_type_.num_agpr, 0
	.set _ZN9rocsparseL27csrsv_analysis_lower_kernelILj1024ELj64ELb1EliEEvT3_PKT2_PKS1_PS2_PiS7_PS1_21rocsparse_index_base_20rocsparse_diag_type_.numbered_sgpr, 21
	.set _ZN9rocsparseL27csrsv_analysis_lower_kernelILj1024ELj64ELb1EliEEvT3_PKT2_PKS1_PS2_PiS7_PS1_21rocsparse_index_base_20rocsparse_diag_type_.num_named_barrier, 0
	.set _ZN9rocsparseL27csrsv_analysis_lower_kernelILj1024ELj64ELb1EliEEvT3_PKT2_PKS1_PS2_PiS7_PS1_21rocsparse_index_base_20rocsparse_diag_type_.private_seg_size, 0
	.set _ZN9rocsparseL27csrsv_analysis_lower_kernelILj1024ELj64ELb1EliEEvT3_PKT2_PKS1_PS2_PiS7_PS1_21rocsparse_index_base_20rocsparse_diag_type_.uses_vcc, 1
	.set _ZN9rocsparseL27csrsv_analysis_lower_kernelILj1024ELj64ELb1EliEEvT3_PKT2_PKS1_PS2_PiS7_PS1_21rocsparse_index_base_20rocsparse_diag_type_.uses_flat_scratch, 0
	.set _ZN9rocsparseL27csrsv_analysis_lower_kernelILj1024ELj64ELb1EliEEvT3_PKT2_PKS1_PS2_PiS7_PS1_21rocsparse_index_base_20rocsparse_diag_type_.has_dyn_sized_stack, 0
	.set _ZN9rocsparseL27csrsv_analysis_lower_kernelILj1024ELj64ELb1EliEEvT3_PKT2_PKS1_PS2_PiS7_PS1_21rocsparse_index_base_20rocsparse_diag_type_.has_recursion, 0
	.set _ZN9rocsparseL27csrsv_analysis_lower_kernelILj1024ELj64ELb1EliEEvT3_PKT2_PKS1_PS2_PiS7_PS1_21rocsparse_index_base_20rocsparse_diag_type_.has_indirect_call, 0
	.section	.AMDGPU.csdata,"",@progbits
; Kernel info:
; codeLenInByte = 1400
; TotalNumSgprs: 23
; NumVgprs: 18
; ScratchSize: 0
; MemoryBound: 0
; FloatMode: 240
; IeeeMode: 1
; LDSByteSize: 64 bytes/workgroup (compile time only)
; SGPRBlocks: 0
; VGPRBlocks: 1
; NumSGPRsForWavesPerEU: 23
; NumVGPRsForWavesPerEU: 18
; NamedBarCnt: 0
; Occupancy: 16
; WaveLimiterHint : 1
; COMPUTE_PGM_RSRC2:SCRATCH_EN: 0
; COMPUTE_PGM_RSRC2:USER_SGPR: 2
; COMPUTE_PGM_RSRC2:TRAP_HANDLER: 0
; COMPUTE_PGM_RSRC2:TGID_X_EN: 1
; COMPUTE_PGM_RSRC2:TGID_Y_EN: 0
; COMPUTE_PGM_RSRC2:TGID_Z_EN: 0
; COMPUTE_PGM_RSRC2:TIDIG_COMP_CNT: 0
	.section	.text._ZN9rocsparseL27csrsv_analysis_upper_kernelILj1024ELj32ELb0EliEEvT3_PKT2_PKS1_PS2_PiS7_PS1_21rocsparse_index_base_20rocsparse_diag_type_,"axG",@progbits,_ZN9rocsparseL27csrsv_analysis_upper_kernelILj1024ELj32ELb0EliEEvT3_PKT2_PKS1_PS2_PiS7_PS1_21rocsparse_index_base_20rocsparse_diag_type_,comdat
	.globl	_ZN9rocsparseL27csrsv_analysis_upper_kernelILj1024ELj32ELb0EliEEvT3_PKT2_PKS1_PS2_PiS7_PS1_21rocsparse_index_base_20rocsparse_diag_type_ ; -- Begin function _ZN9rocsparseL27csrsv_analysis_upper_kernelILj1024ELj32ELb0EliEEvT3_PKT2_PKS1_PS2_PiS7_PS1_21rocsparse_index_base_20rocsparse_diag_type_
	.p2align	8
	.type	_ZN9rocsparseL27csrsv_analysis_upper_kernelILj1024ELj32ELb0EliEEvT3_PKT2_PKS1_PS2_PiS7_PS1_21rocsparse_index_base_20rocsparse_diag_type_,@function
_ZN9rocsparseL27csrsv_analysis_upper_kernelILj1024ELj32ELb0EliEEvT3_PKT2_PKS1_PS2_PiS7_PS1_21rocsparse_index_base_20rocsparse_diag_type_: ; @_ZN9rocsparseL27csrsv_analysis_upper_kernelILj1024ELj32ELb0EliEEvT3_PKT2_PKS1_PS2_PiS7_PS1_21rocsparse_index_base_20rocsparse_diag_type_
; %bb.0:
	s_load_b32 s14, s[0:1], 0x0
	s_bfe_u32 s2, ttmp6, 0x4000c
	s_and_b32 s3, ttmp6, 15
	s_add_co_i32 s2, s2, 1
	s_getreg_b32 s4, hwreg(HW_REG_IB_STS2, 6, 4)
	s_mul_i32 s2, ttmp9, s2
	v_dual_lshrrev_b32 v1, 5, v0 :: v_dual_mov_b32 v9, 0
	s_add_co_i32 s3, s3, s2
	s_cmp_eq_u32 s4, 0
	s_cselect_b32 s2, ttmp9, s3
	s_delay_alu instid0(SALU_CYCLE_1) | instskip(NEXT) | instid1(SALU_CYCLE_1)
	s_lshl_b32 s15, s2, 5
	s_not_b32 s2, s15
	s_wait_kmcnt 0x0
	s_add_co_i32 s16, s14, s2
	s_delay_alu instid0(SALU_CYCLE_1)
	v_dual_lshlrev_b32 v14, 2, v1 :: v_dual_sub_nc_u32 v2, s16, v1
	s_mov_b32 s2, exec_lo
	ds_store_b32 v14, v9
	s_wait_dscnt 0x0
	s_barrier_signal -1
	s_barrier_wait -1
	v_cmpx_lt_i32_e32 -1, v2
	s_cbranch_execz .LBB8_32
; %bb.1:
	s_clause 0x1
	s_load_b64 s[4:5], s[0:1], 0x18
	s_load_b64 s[2:3], s[0:1], 0x8
	v_dual_mov_b32 v3, v9 :: v_dual_bitop2_b32 v15, 31, v0 bitop3:0x40
	s_wait_kmcnt 0x0
	s_delay_alu instid0(VALU_DEP_1) | instskip(SKIP_1) | instid1(VALU_DEP_2)
	v_lshl_add_u64 v[0:1], v[2:3], 3, s[4:5]
	s_mov_b32 s4, exec_lo
	v_cmpx_eq_u32_e32 0, v15
	s_cbranch_execz .LBB8_3
; %bb.2:
	v_mov_b64_e32 v[4:5], -1
	global_store_b64 v[0:1], v[4:5], off
.LBB8_3:
	s_wait_xcnt 0x0
	s_or_b32 exec_lo, exec_lo, s4
	v_lshl_add_u64 v[4:5], v[2:3], 3, s[2:3]
	s_load_b256 s[4:11], s[0:1], 0x20
	v_not_b32_e32 v16, v15
	s_mov_b32 s3, 0
	global_load_b128 v[10:13], v[4:5], off
	v_ashrrev_i32_e32 v17, 31, v16
	s_wait_kmcnt 0x0
	s_mov_b32 s2, s10
	s_wait_loadcnt 0x0
	v_sub_nc_u64_e64 v[4:5], v[12:13], s[2:3]
	v_sub_nc_u64_e64 v[6:7], v[10:11], s[2:3]
	s_mov_b32 s2, exec_lo
	s_delay_alu instid0(VALU_DEP_2) | instskip(NEXT) | instid1(VALU_DEP_1)
	v_add_nc_u64_e32 v[12:13], v[4:5], v[16:17]
	v_cmpx_ge_i64_e64 v[12:13], v[6:7]
	s_cbranch_execz .LBB8_22
; %bb.4:
	s_load_b64 s[0:1], s[0:1], 0x10
	v_mov_b32_e32 v9, 0
	s_mov_b64 s[12:13], 0xffffffffffffffe0
                                        ; implicit-def: $sgpr17
                                        ; implicit-def: $sgpr19
                                        ; implicit-def: $sgpr18
	s_branch .LBB8_7
.LBB8_5:                                ;   in Loop: Header=BB8_7 Depth=1
	s_or_b32 exec_lo, exec_lo, s21
	v_add_nc_u64_e32 v[12:13], s[12:13], v[10:11]
	v_max_i32_e32 v9, v9, v16
	s_and_not1_b32 s19, s19, exec_lo
	s_and_not1_b32 s18, s18, exec_lo
	s_delay_alu instid0(VALU_DEP_2) | instskip(SKIP_1) | instid1(SALU_CYCLE_1)
	v_cmp_lt_i64_e32 vcc_lo, v[12:13], v[6:7]
	s_and_b32 s21, vcc_lo, exec_lo
	s_or_b32 s19, s19, s21
.LBB8_6:                                ;   in Loop: Header=BB8_7 Depth=1
	s_or_b32 exec_lo, exec_lo, s20
	s_delay_alu instid0(SALU_CYCLE_1) | instskip(NEXT) | instid1(SALU_CYCLE_1)
	s_and_b32 s20, exec_lo, s19
	s_or_b32 s3, s20, s3
	s_and_not1_b32 s17, s17, exec_lo
	s_and_b32 s20, s18, exec_lo
	s_delay_alu instid0(SALU_CYCLE_1)
	s_or_b32 s17, s17, s20
	s_and_not1_b32 exec_lo, exec_lo, s3
	s_cbranch_execz .LBB8_12
.LBB8_7:                                ; =>This Loop Header: Depth=1
                                        ;     Child Loop BB8_10 Depth 2
	v_mov_b64_e32 v[10:11], v[12:13]
	s_delay_alu instid0(VALU_DEP_2) | instskip(SKIP_4) | instid1(VALU_DEP_2)
	v_mov_b32_e32 v16, v9
	s_or_b32 s18, s18, exec_lo
	s_or_b32 s19, s19, exec_lo
	s_mov_b32 s20, exec_lo
                                        ; implicit-def: $vgpr9
	s_wait_kmcnt 0x0
	v_lshl_add_u64 v[12:13], v[10:11], 2, s[0:1]
	global_load_b32 v8, v[12:13], off th:TH_LOAD_NT
                                        ; implicit-def: $vgpr12_vgpr13
	s_wait_loadcnt 0x0
	v_subrev_nc_u32_e32 v8, s10, v8
	s_wait_xcnt 0x0
	s_delay_alu instid0(VALU_DEP_1)
	v_cmpx_lt_i32_e64 s16, v8
	s_cbranch_execz .LBB8_6
; %bb.8:                                ;   in Loop: Header=BB8_7 Depth=1
	global_load_b32 v9, v8, s[4:5] scale_offset scope:SCOPE_DEV
	s_mov_b32 s21, exec_lo
	s_wait_loadcnt 0x0
	v_cmpx_eq_u32_e32 0, v9
	s_cbranch_execz .LBB8_5
; %bb.9:                                ;   in Loop: Header=BB8_7 Depth=1
	v_ashrrev_i32_e32 v9, 31, v8
	s_mov_b32 s22, 0
	s_delay_alu instid0(VALU_DEP_1)
	v_lshl_add_u64 v[12:13], v[8:9], 2, s[4:5]
.LBB8_10:                               ;   Parent Loop BB8_7 Depth=1
                                        ; =>  This Inner Loop Header: Depth=2
	global_load_b32 v9, v[12:13], off scope:SCOPE_DEV
	s_wait_loadcnt 0x0
	v_cmp_ne_u32_e32 vcc_lo, 0, v9
	s_or_b32 s22, vcc_lo, s22
	s_wait_xcnt 0x0
	s_and_not1_b32 exec_lo, exec_lo, s22
	s_cbranch_execnz .LBB8_10
; %bb.11:                               ;   in Loop: Header=BB8_7 Depth=1
	s_or_b32 exec_lo, exec_lo, s22
	s_branch .LBB8_5
.LBB8_12:
	s_or_b32 exec_lo, exec_lo, s3
	s_and_saveexec_b32 s0, s17
	s_delay_alu instid0(SALU_CYCLE_1)
	s_xor_b32 s0, exec_lo, s0
	s_cbranch_execz .LBB8_21
; %bb.13:
	s_mov_b32 s1, exec_lo
	v_cmpx_eq_u32_e64 v8, v2
	s_cbranch_execz .LBB8_15
; %bb.14:
	global_store_b64 v[0:1], v[10:11], off
.LBB8_15:
	s_wait_xcnt 0x0
	s_or_b32 exec_lo, exec_lo, s1
	s_delay_alu instid0(SALU_CYCLE_1)
	s_mov_b32 s1, exec_lo
	v_cmpx_gt_i32_e64 v8, v2
	s_cbranch_execz .LBB8_20
; %bb.16:
	s_xor_b32 s3, s15, 0x3fffffe0
	s_mov_b32 s12, 0
	s_add_co_i32 s14, s14, s3
	s_mov_b32 s3, exec_lo
	v_sub_nc_u32_e32 v8, s14, v8
	s_delay_alu instid0(VALU_DEP_1)
	v_lshlrev_b32_e32 v9, 2, v8
	ds_load_b32 v8, v9 offset:124
	s_wait_dscnt 0x0
	v_cmpx_eq_u32_e32 0, v8
	s_cbranch_execz .LBB8_19
.LBB8_17:                               ; =>This Inner Loop Header: Depth=1
	ds_load_b32 v8, v9 offset:124
	s_wait_dscnt 0x0
	v_cmp_ne_u32_e32 vcc_lo, 0, v8
	s_or_b32 s12, vcc_lo, s12
	s_delay_alu instid0(SALU_CYCLE_1)
	s_and_not1_b32 exec_lo, exec_lo, s12
	s_cbranch_execnz .LBB8_17
; %bb.18:
	s_or_b32 exec_lo, exec_lo, s12
.LBB8_19:
	s_delay_alu instid0(SALU_CYCLE_1)
	s_or_b32 exec_lo, exec_lo, s3
	v_max_i32_e32 v16, v8, v16
.LBB8_20:
	s_or_b32 exec_lo, exec_lo, s1
	s_delay_alu instid0(VALU_DEP_1)
	v_mov_b32_e32 v9, v16
.LBB8_21:
	s_or_b32 exec_lo, exec_lo, s0
.LBB8_22:
	s_delay_alu instid0(SALU_CYCLE_1) | instskip(SKIP_2) | instid1(VALU_DEP_1)
	s_or_b32 exec_lo, exec_lo, s2
	v_mbcnt_lo_u32_b32 v8, -1, 0
	s_wait_storecnt 0x0
	v_xor_b32_e32 v11, 8, v8
	v_xor_b32_e32 v10, 16, v8
	s_delay_alu instid0(VALU_DEP_1) | instskip(SKIP_1) | instid1(VALU_DEP_4)
	v_cmp_gt_i32_e32 vcc_lo, 32, v10
	v_cndmask_b32_e32 v10, v8, v10, vcc_lo
	v_cmp_gt_i32_e32 vcc_lo, 32, v11
	v_cndmask_b32_e32 v11, v8, v11, vcc_lo
	s_delay_alu instid0(VALU_DEP_1)
	v_dual_lshlrev_b32 v11, 2, v11 :: v_dual_lshlrev_b32 v10, 2, v10
	ds_bpermute_b32 v10, v10, v9
	s_wait_dscnt 0x0
	v_max_i32_e32 v9, v9, v10
	ds_bpermute_b32 v10, v11, v9
	v_xor_b32_e32 v11, 4, v8
	s_delay_alu instid0(VALU_DEP_1) | instskip(SKIP_2) | instid1(VALU_DEP_1)
	v_cmp_gt_i32_e32 vcc_lo, 32, v11
	v_cndmask_b32_e32 v11, v8, v11, vcc_lo
	s_wait_dscnt 0x0
	v_dual_lshlrev_b32 v11, 2, v11 :: v_dual_max_i32 v9, v9, v10
	ds_bpermute_b32 v10, v11, v9
	v_xor_b32_e32 v11, 2, v8
	s_delay_alu instid0(VALU_DEP_1) | instskip(SKIP_2) | instid1(VALU_DEP_1)
	v_cmp_gt_i32_e32 vcc_lo, 32, v11
	s_wait_dscnt 0x0
	v_dual_cndmask_b32 v11, v8, v11, vcc_lo :: v_dual_max_i32 v9, v9, v10
	v_lshlrev_b32_e32 v11, 2, v11
	ds_bpermute_b32 v10, v11, v9
	v_xor_b32_e32 v11, 1, v8
	s_delay_alu instid0(VALU_DEP_1) | instskip(SKIP_3) | instid1(VALU_DEP_2)
	v_cmp_gt_i32_e32 vcc_lo, 32, v11
	v_cndmask_b32_e32 v11, v8, v11, vcc_lo
	v_cmp_eq_u32_e32 vcc_lo, 31, v15
	s_wait_dscnt 0x0
	v_dual_lshlrev_b32 v9, 2, v11 :: v_dual_max_i32 v8, v9, v10
	ds_bpermute_b32 v9, v9, v8
	s_and_b32 exec_lo, exec_lo, vcc_lo
	s_cbranch_execz .LBB8_32
; %bb.23:
	s_wait_dscnt 0x0
	v_max_i32_e32 v8, v8, v9
	v_sub_nc_u64_e32 v[6:7], v[4:5], v[6:7]
	v_mov_b64_e32 v[4:5], 0
	s_mov_b32 s0, exec_lo
	s_delay_alu instid0(VALU_DEP_3)
	v_add_nc_u32_e32 v10, 1, v8
	v_lshl_add_u64 v[8:9], v[2:3], 2, s[4:5]
	ds_store_b32 v14, v10
	global_store_b32 v[8:9], v10, off scope:SCOPE_DEV
.LBB8_24:                               ; =>This Inner Loop Header: Depth=1
	s_ctz_i32_b32 s1, s0
	s_delay_alu instid0(SALU_CYCLE_1) | instskip(SKIP_2) | instid1(SALU_CYCLE_1)
	v_readlane_b32 s3, v7, s1
	v_readlane_b32 s2, v6, s1
	s_lshl_b32 s1, 1, s1
	s_and_not1_b32 s0, s0, s1
	v_max_u64 v[4:5], v[4:5], s[2:3]
	s_cmp_lg_u32 s0, 0
	s_cbranch_scc1 .LBB8_24
; %bb.25:
	v_mbcnt_lo_u32_b32 v3, exec_lo, 0
	s_mov_b32 s0, exec_lo
	s_wait_xcnt 0x0
	s_delay_alu instid0(VALU_DEP_1)
	v_cmpx_eq_u32_e32 0, v3
	s_xor_b32 s0, exec_lo, s0
	s_cbranch_execz .LBB8_27
; %bb.26:
	v_mov_b32_e32 v3, 0
	global_atomic_max_u64 v3, v[4:5], s[6:7] scope:SCOPE_DEV
.LBB8_27:
	s_wait_xcnt 0x0
	s_or_b32 exec_lo, exec_lo, s0
	global_load_b64 v[0:1], v[0:1], off
	s_cmp_eq_u32 s11, 0
	s_cselect_b32 s0, -1, 0
	s_wait_loadcnt 0x0
	v_cmp_eq_u64_e32 vcc_lo, -1, v[0:1]
	s_and_b32 s0, s0, vcc_lo
	s_wait_xcnt 0x0
	s_and_b32 exec_lo, exec_lo, s0
	s_cbranch_execz .LBB8_32
; %bb.28:
	v_add_nc_u32_e32 v0, s10, v2
	s_mov_b32 s1, exec_lo
	s_brev_b32 s0, -2
.LBB8_29:                               ; =>This Inner Loop Header: Depth=1
	s_ctz_i32_b32 s2, s1
	s_delay_alu instid0(VALU_DEP_1) | instid1(SALU_CYCLE_1)
	v_readlane_b32 s3, v0, s2
	s_lshl_b32 s2, 1, s2
	s_delay_alu instid0(SALU_CYCLE_1)
	s_and_not1_b32 s1, s1, s2
	s_min_i32 s0, s0, s3
	s_cmp_lg_u32 s1, 0
	s_cbranch_scc1 .LBB8_29
; %bb.30:
	v_mbcnt_lo_u32_b32 v0, exec_lo, 0
	s_mov_b32 s1, exec_lo
	s_delay_alu instid0(VALU_DEP_1)
	v_cmpx_eq_u32_e32 0, v0
	s_xor_b32 s1, exec_lo, s1
	s_cbranch_execz .LBB8_32
; %bb.31:
	v_dual_mov_b32 v0, 0 :: v_dual_mov_b32 v1, s0
	global_atomic_min_i32 v0, v1, s[8:9] scope:SCOPE_DEV
.LBB8_32:
	s_endpgm
	.section	.rodata,"a",@progbits
	.p2align	6, 0x0
	.amdhsa_kernel _ZN9rocsparseL27csrsv_analysis_upper_kernelILj1024ELj32ELb0EliEEvT3_PKT2_PKS1_PS2_PiS7_PS1_21rocsparse_index_base_20rocsparse_diag_type_
		.amdhsa_group_segment_fixed_size 128
		.amdhsa_private_segment_fixed_size 0
		.amdhsa_kernarg_size 64
		.amdhsa_user_sgpr_count 2
		.amdhsa_user_sgpr_dispatch_ptr 0
		.amdhsa_user_sgpr_queue_ptr 0
		.amdhsa_user_sgpr_kernarg_segment_ptr 1
		.amdhsa_user_sgpr_dispatch_id 0
		.amdhsa_user_sgpr_kernarg_preload_length 0
		.amdhsa_user_sgpr_kernarg_preload_offset 0
		.amdhsa_user_sgpr_private_segment_size 0
		.amdhsa_wavefront_size32 1
		.amdhsa_uses_dynamic_stack 0
		.amdhsa_enable_private_segment 0
		.amdhsa_system_sgpr_workgroup_id_x 1
		.amdhsa_system_sgpr_workgroup_id_y 0
		.amdhsa_system_sgpr_workgroup_id_z 0
		.amdhsa_system_sgpr_workgroup_info 0
		.amdhsa_system_vgpr_workitem_id 0
		.amdhsa_next_free_vgpr 18
		.amdhsa_next_free_sgpr 23
		.amdhsa_named_barrier_count 0
		.amdhsa_reserve_vcc 1
		.amdhsa_float_round_mode_32 0
		.amdhsa_float_round_mode_16_64 0
		.amdhsa_float_denorm_mode_32 3
		.amdhsa_float_denorm_mode_16_64 3
		.amdhsa_fp16_overflow 0
		.amdhsa_memory_ordered 1
		.amdhsa_forward_progress 1
		.amdhsa_inst_pref_size 11
		.amdhsa_round_robin_scheduling 0
		.amdhsa_exception_fp_ieee_invalid_op 0
		.amdhsa_exception_fp_denorm_src 0
		.amdhsa_exception_fp_ieee_div_zero 0
		.amdhsa_exception_fp_ieee_overflow 0
		.amdhsa_exception_fp_ieee_underflow 0
		.amdhsa_exception_fp_ieee_inexact 0
		.amdhsa_exception_int_div_zero 0
	.end_amdhsa_kernel
	.section	.text._ZN9rocsparseL27csrsv_analysis_upper_kernelILj1024ELj32ELb0EliEEvT3_PKT2_PKS1_PS2_PiS7_PS1_21rocsparse_index_base_20rocsparse_diag_type_,"axG",@progbits,_ZN9rocsparseL27csrsv_analysis_upper_kernelILj1024ELj32ELb0EliEEvT3_PKT2_PKS1_PS2_PiS7_PS1_21rocsparse_index_base_20rocsparse_diag_type_,comdat
.Lfunc_end8:
	.size	_ZN9rocsparseL27csrsv_analysis_upper_kernelILj1024ELj32ELb0EliEEvT3_PKT2_PKS1_PS2_PiS7_PS1_21rocsparse_index_base_20rocsparse_diag_type_, .Lfunc_end8-_ZN9rocsparseL27csrsv_analysis_upper_kernelILj1024ELj32ELb0EliEEvT3_PKT2_PKS1_PS2_PiS7_PS1_21rocsparse_index_base_20rocsparse_diag_type_
                                        ; -- End function
	.set _ZN9rocsparseL27csrsv_analysis_upper_kernelILj1024ELj32ELb0EliEEvT3_PKT2_PKS1_PS2_PiS7_PS1_21rocsparse_index_base_20rocsparse_diag_type_.num_vgpr, 18
	.set _ZN9rocsparseL27csrsv_analysis_upper_kernelILj1024ELj32ELb0EliEEvT3_PKT2_PKS1_PS2_PiS7_PS1_21rocsparse_index_base_20rocsparse_diag_type_.num_agpr, 0
	.set _ZN9rocsparseL27csrsv_analysis_upper_kernelILj1024ELj32ELb0EliEEvT3_PKT2_PKS1_PS2_PiS7_PS1_21rocsparse_index_base_20rocsparse_diag_type_.numbered_sgpr, 23
	.set _ZN9rocsparseL27csrsv_analysis_upper_kernelILj1024ELj32ELb0EliEEvT3_PKT2_PKS1_PS2_PiS7_PS1_21rocsparse_index_base_20rocsparse_diag_type_.num_named_barrier, 0
	.set _ZN9rocsparseL27csrsv_analysis_upper_kernelILj1024ELj32ELb0EliEEvT3_PKT2_PKS1_PS2_PiS7_PS1_21rocsparse_index_base_20rocsparse_diag_type_.private_seg_size, 0
	.set _ZN9rocsparseL27csrsv_analysis_upper_kernelILj1024ELj32ELb0EliEEvT3_PKT2_PKS1_PS2_PiS7_PS1_21rocsparse_index_base_20rocsparse_diag_type_.uses_vcc, 1
	.set _ZN9rocsparseL27csrsv_analysis_upper_kernelILj1024ELj32ELb0EliEEvT3_PKT2_PKS1_PS2_PiS7_PS1_21rocsparse_index_base_20rocsparse_diag_type_.uses_flat_scratch, 0
	.set _ZN9rocsparseL27csrsv_analysis_upper_kernelILj1024ELj32ELb0EliEEvT3_PKT2_PKS1_PS2_PiS7_PS1_21rocsparse_index_base_20rocsparse_diag_type_.has_dyn_sized_stack, 0
	.set _ZN9rocsparseL27csrsv_analysis_upper_kernelILj1024ELj32ELb0EliEEvT3_PKT2_PKS1_PS2_PiS7_PS1_21rocsparse_index_base_20rocsparse_diag_type_.has_recursion, 0
	.set _ZN9rocsparseL27csrsv_analysis_upper_kernelILj1024ELj32ELb0EliEEvT3_PKT2_PKS1_PS2_PiS7_PS1_21rocsparse_index_base_20rocsparse_diag_type_.has_indirect_call, 0
	.section	.AMDGPU.csdata,"",@progbits
; Kernel info:
; codeLenInByte = 1288
; TotalNumSgprs: 25
; NumVgprs: 18
; ScratchSize: 0
; MemoryBound: 0
; FloatMode: 240
; IeeeMode: 1
; LDSByteSize: 128 bytes/workgroup (compile time only)
; SGPRBlocks: 0
; VGPRBlocks: 1
; NumSGPRsForWavesPerEU: 25
; NumVGPRsForWavesPerEU: 18
; NamedBarCnt: 0
; Occupancy: 16
; WaveLimiterHint : 1
; COMPUTE_PGM_RSRC2:SCRATCH_EN: 0
; COMPUTE_PGM_RSRC2:USER_SGPR: 2
; COMPUTE_PGM_RSRC2:TRAP_HANDLER: 0
; COMPUTE_PGM_RSRC2:TGID_X_EN: 1
; COMPUTE_PGM_RSRC2:TGID_Y_EN: 0
; COMPUTE_PGM_RSRC2:TGID_Z_EN: 0
; COMPUTE_PGM_RSRC2:TIDIG_COMP_CNT: 0
	.section	.text._ZN9rocsparseL27csrsv_analysis_lower_kernelILj1024ELj32ELb0EliEEvT3_PKT2_PKS1_PS2_PiS7_PS1_21rocsparse_index_base_20rocsparse_diag_type_,"axG",@progbits,_ZN9rocsparseL27csrsv_analysis_lower_kernelILj1024ELj32ELb0EliEEvT3_PKT2_PKS1_PS2_PiS7_PS1_21rocsparse_index_base_20rocsparse_diag_type_,comdat
	.globl	_ZN9rocsparseL27csrsv_analysis_lower_kernelILj1024ELj32ELb0EliEEvT3_PKT2_PKS1_PS2_PiS7_PS1_21rocsparse_index_base_20rocsparse_diag_type_ ; -- Begin function _ZN9rocsparseL27csrsv_analysis_lower_kernelILj1024ELj32ELb0EliEEvT3_PKT2_PKS1_PS2_PiS7_PS1_21rocsparse_index_base_20rocsparse_diag_type_
	.p2align	8
	.type	_ZN9rocsparseL27csrsv_analysis_lower_kernelILj1024ELj32ELb0EliEEvT3_PKT2_PKS1_PS2_PiS7_PS1_21rocsparse_index_base_20rocsparse_diag_type_,@function
_ZN9rocsparseL27csrsv_analysis_lower_kernelILj1024ELj32ELb0EliEEvT3_PKT2_PKS1_PS2_PiS7_PS1_21rocsparse_index_base_20rocsparse_diag_type_: ; @_ZN9rocsparseL27csrsv_analysis_lower_kernelILj1024ELj32ELb0EliEEvT3_PKT2_PKS1_PS2_PiS7_PS1_21rocsparse_index_base_20rocsparse_diag_type_
; %bb.0:
	s_load_b32 s2, s[0:1], 0x0
	s_bfe_u32 s3, ttmp6, 0x4000c
	s_and_b32 s4, ttmp6, 15
	s_add_co_i32 s3, s3, 1
	s_getreg_b32 s5, hwreg(HW_REG_IB_STS2, 6, 4)
	s_mul_i32 s3, ttmp9, s3
	v_dual_lshrrev_b32 v1, 5, v0 :: v_dual_mov_b32 v3, 0
	s_add_co_i32 s4, s4, s3
	s_cmp_eq_u32 s5, 0
	s_cselect_b32 s3, ttmp9, s4
	s_delay_alu instid0(SALU_CYCLE_1) | instskip(NEXT) | instid1(SALU_CYCLE_1)
	s_lshl_b32 s12, s3, 5
	v_dual_lshlrev_b32 v16, 2, v1 :: v_dual_bitop2_b32 v2, s12, v1 bitop3:0x54
	ds_store_b32 v16, v3
	s_wait_kmcnt 0x0
	v_cmp_gt_i32_e32 vcc_lo, s2, v2
	s_wait_dscnt 0x0
	s_barrier_signal -1
	s_barrier_wait -1
	s_and_saveexec_b32 s2, vcc_lo
	s_cbranch_execz .LBB9_32
; %bb.1:
	s_clause 0x1
	s_load_b64 s[4:5], s[0:1], 0x18
	s_load_b64 s[2:3], s[0:1], 0x8
	v_dual_ashrrev_i32 v3, 31, v2 :: v_dual_bitop2_b32 v4, 31, v0 bitop3:0x40
	s_wait_kmcnt 0x0
	s_delay_alu instid0(VALU_DEP_1) | instskip(SKIP_1) | instid1(VALU_DEP_2)
	v_lshl_add_u64 v[0:1], v[2:3], 3, s[4:5]
	s_mov_b32 s4, exec_lo
	v_cmpx_eq_u32_e32 0, v4
	s_cbranch_execz .LBB9_3
; %bb.2:
	v_mov_b64_e32 v[6:7], -1
	global_store_b64 v[0:1], v[6:7], off
.LBB9_3:
	s_wait_xcnt 0x0
	s_or_b32 exec_lo, exec_lo, s4
	v_lshl_add_u64 v[6:7], v[2:3], 3, s[2:3]
	s_load_b256 s[4:11], s[0:1], 0x20
	s_mov_b32 s3, 0
	v_mov_b32_e32 v5, 0
	global_load_b128 v[6:9], v[6:7], off
	s_wait_kmcnt 0x0
	s_mov_b32 s2, s10
	s_wait_loadcnt 0x0
	v_sub_nc_u64_e64 v[6:7], v[6:7], s[2:3]
	v_sub_nc_u64_e64 v[8:9], v[8:9], s[2:3]
	s_mov_b32 s2, exec_lo
	s_delay_alu instid0(VALU_DEP_2) | instskip(NEXT) | instid1(VALU_DEP_1)
	v_add_nc_u64_e32 v[14:15], v[6:7], v[4:5]
	v_cmpx_lt_i64_e64 v[14:15], v[8:9]
	s_cbranch_execz .LBB9_22
; %bb.4:
	s_load_b64 s[0:1], s[0:1], 0x10
	v_mov_b32_e32 v5, 0
                                        ; implicit-def: $sgpr13
                                        ; implicit-def: $sgpr15
                                        ; implicit-def: $sgpr14
	s_branch .LBB9_7
.LBB9_5:                                ;   in Loop: Header=BB9_7 Depth=1
	s_or_b32 exec_lo, exec_lo, s17
	v_add_nc_u64_e32 v[14:15], 32, v[12:13]
	v_max_i32_e32 v5, v5, v17
	s_and_not1_b32 s15, s15, exec_lo
	s_and_not1_b32 s14, s14, exec_lo
	s_delay_alu instid0(VALU_DEP_2) | instskip(SKIP_1) | instid1(SALU_CYCLE_1)
	v_cmp_ge_i64_e32 vcc_lo, v[14:15], v[8:9]
	s_and_b32 s17, vcc_lo, exec_lo
	s_or_b32 s15, s15, s17
.LBB9_6:                                ;   in Loop: Header=BB9_7 Depth=1
	s_or_b32 exec_lo, exec_lo, s16
	s_delay_alu instid0(SALU_CYCLE_1) | instskip(NEXT) | instid1(SALU_CYCLE_1)
	s_and_b32 s16, exec_lo, s15
	s_or_b32 s3, s16, s3
	s_and_not1_b32 s13, s13, exec_lo
	s_and_b32 s16, s14, exec_lo
	s_delay_alu instid0(SALU_CYCLE_1)
	s_or_b32 s13, s13, s16
	s_and_not1_b32 exec_lo, exec_lo, s3
	s_cbranch_execz .LBB9_12
.LBB9_7:                                ; =>This Loop Header: Depth=1
                                        ;     Child Loop BB9_10 Depth 2
	v_mov_b64_e32 v[12:13], v[14:15]
	s_delay_alu instid0(VALU_DEP_2) | instskip(SKIP_4) | instid1(VALU_DEP_2)
	v_mov_b32_e32 v17, v5
	s_or_b32 s14, s14, exec_lo
	s_or_b32 s15, s15, exec_lo
	s_mov_b32 s16, exec_lo
                                        ; implicit-def: $vgpr14_vgpr15
	s_wait_kmcnt 0x0
	v_lshl_add_u64 v[10:11], v[12:13], 2, s[0:1]
	global_load_b32 v10, v[10:11], off th:TH_LOAD_NT
	s_wait_loadcnt 0x0
	v_subrev_nc_u32_e32 v10, s10, v10
	s_delay_alu instid0(VALU_DEP_1)
	v_cmpx_gt_i32_e64 s12, v10
	s_cbranch_execz .LBB9_6
; %bb.8:                                ;   in Loop: Header=BB9_7 Depth=1
	global_load_b32 v5, v10, s[4:5] scale_offset scope:SCOPE_DEV
	s_mov_b32 s17, exec_lo
	s_wait_loadcnt 0x0
	v_cmpx_eq_u32_e32 0, v5
	s_cbranch_execz .LBB9_5
; %bb.9:                                ;   in Loop: Header=BB9_7 Depth=1
	v_ashrrev_i32_e32 v11, 31, v10
	s_mov_b32 s18, 0
	s_delay_alu instid0(VALU_DEP_1)
	v_lshl_add_u64 v[14:15], v[10:11], 2, s[4:5]
.LBB9_10:                               ;   Parent Loop BB9_7 Depth=1
                                        ; =>  This Inner Loop Header: Depth=2
	global_load_b32 v5, v[14:15], off scope:SCOPE_DEV
	s_wait_loadcnt 0x0
	v_cmp_ne_u32_e32 vcc_lo, 0, v5
	s_or_b32 s18, vcc_lo, s18
	s_wait_xcnt 0x0
	s_and_not1_b32 exec_lo, exec_lo, s18
	s_cbranch_execnz .LBB9_10
; %bb.11:                               ;   in Loop: Header=BB9_7 Depth=1
	s_or_b32 exec_lo, exec_lo, s18
	s_branch .LBB9_5
.LBB9_12:
	s_or_b32 exec_lo, exec_lo, s3
	s_and_saveexec_b32 s0, s13
	s_delay_alu instid0(SALU_CYCLE_1)
	s_xor_b32 s0, exec_lo, s0
	s_cbranch_execz .LBB9_21
; %bb.13:
	s_mov_b32 s1, exec_lo
	v_cmpx_eq_u32_e64 v10, v2
	s_cbranch_execz .LBB9_15
; %bb.14:
	global_store_b64 v[0:1], v[12:13], off
.LBB9_15:
	s_wait_xcnt 0x0
	s_or_b32 exec_lo, exec_lo, s1
	s_delay_alu instid0(SALU_CYCLE_1)
	s_mov_b32 s1, exec_lo
	v_cmpx_lt_i32_e64 v10, v2
	s_cbranch_execz .LBB9_20
; %bb.16:
	v_subrev_nc_u32_e32 v5, s12, v10
	s_mov_b32 s12, 0
	s_mov_b32 s3, exec_lo
	s_delay_alu instid0(VALU_DEP_1)
	v_lshlrev_b32_e32 v10, 2, v5
	ds_load_b32 v5, v10
	s_wait_dscnt 0x0
	v_cmpx_eq_u32_e32 0, v5
	s_cbranch_execz .LBB9_19
.LBB9_17:                               ; =>This Inner Loop Header: Depth=1
	ds_load_b32 v5, v10
	s_wait_dscnt 0x0
	v_cmp_ne_u32_e32 vcc_lo, 0, v5
	s_or_b32 s12, vcc_lo, s12
	s_delay_alu instid0(SALU_CYCLE_1)
	s_and_not1_b32 exec_lo, exec_lo, s12
	s_cbranch_execnz .LBB9_17
; %bb.18:
	s_or_b32 exec_lo, exec_lo, s12
.LBB9_19:
	s_delay_alu instid0(SALU_CYCLE_1)
	s_or_b32 exec_lo, exec_lo, s3
	v_max_i32_e32 v17, v5, v17
.LBB9_20:
	s_or_b32 exec_lo, exec_lo, s1
	s_delay_alu instid0(VALU_DEP_1)
	v_mov_b32_e32 v5, v17
.LBB9_21:
	s_or_b32 exec_lo, exec_lo, s0
.LBB9_22:
	s_delay_alu instid0(SALU_CYCLE_1) | instskip(SKIP_2) | instid1(VALU_DEP_1)
	s_or_b32 exec_lo, exec_lo, s2
	v_mbcnt_lo_u32_b32 v10, -1, 0
	s_wait_storecnt 0x0
	v_xor_b32_e32 v12, 8, v10
	v_xor_b32_e32 v11, 16, v10
	s_delay_alu instid0(VALU_DEP_1) | instskip(SKIP_1) | instid1(VALU_DEP_4)
	v_cmp_gt_i32_e32 vcc_lo, 32, v11
	v_cndmask_b32_e32 v11, v10, v11, vcc_lo
	v_cmp_gt_i32_e32 vcc_lo, 32, v12
	v_cndmask_b32_e32 v12, v10, v12, vcc_lo
	s_delay_alu instid0(VALU_DEP_1)
	v_dual_lshlrev_b32 v12, 2, v12 :: v_dual_lshlrev_b32 v11, 2, v11
	ds_bpermute_b32 v11, v11, v5
	s_wait_dscnt 0x0
	v_max_i32_e32 v5, v5, v11
	ds_bpermute_b32 v11, v12, v5
	v_xor_b32_e32 v12, 4, v10
	s_delay_alu instid0(VALU_DEP_1) | instskip(SKIP_2) | instid1(VALU_DEP_1)
	v_cmp_gt_i32_e32 vcc_lo, 32, v12
	v_cndmask_b32_e32 v12, v10, v12, vcc_lo
	s_wait_dscnt 0x0
	v_dual_lshlrev_b32 v12, 2, v12 :: v_dual_max_i32 v5, v5, v11
	ds_bpermute_b32 v11, v12, v5
	v_xor_b32_e32 v12, 2, v10
	s_delay_alu instid0(VALU_DEP_1) | instskip(SKIP_2) | instid1(VALU_DEP_1)
	v_cmp_gt_i32_e32 vcc_lo, 32, v12
	s_wait_dscnt 0x0
	v_dual_cndmask_b32 v12, v10, v12 :: v_dual_max_i32 v5, v5, v11
	v_lshlrev_b32_e32 v12, 2, v12
	ds_bpermute_b32 v11, v12, v5
	v_xor_b32_e32 v12, 1, v10
	s_delay_alu instid0(VALU_DEP_1) | instskip(SKIP_3) | instid1(VALU_DEP_2)
	v_cmp_gt_i32_e32 vcc_lo, 32, v12
	v_cndmask_b32_e32 v10, v10, v12, vcc_lo
	v_cmp_eq_u32_e32 vcc_lo, 31, v4
	s_wait_dscnt 0x0
	v_dual_lshlrev_b32 v10, 2, v10 :: v_dual_max_i32 v5, v5, v11
	ds_bpermute_b32 v10, v10, v5
	s_and_b32 exec_lo, exec_lo, vcc_lo
	s_cbranch_execz .LBB9_32
; %bb.23:
	s_wait_dscnt 0x0
	v_max_i32_e32 v10, v5, v10
	v_sub_nc_u64_e32 v[6:7], v[8:9], v[6:7]
	v_mov_b64_e32 v[4:5], 0
	v_lshl_add_u64 v[8:9], v[2:3], 2, s[4:5]
	s_mov_b32 s0, exec_lo
	v_add_nc_u32_e32 v10, 1, v10
	ds_store_b32 v16, v10
	global_store_b32 v[8:9], v10, off scope:SCOPE_DEV
.LBB9_24:                               ; =>This Inner Loop Header: Depth=1
	s_ctz_i32_b32 s1, s0
	s_delay_alu instid0(SALU_CYCLE_1) | instskip(SKIP_2) | instid1(SALU_CYCLE_1)
	v_readlane_b32 s3, v7, s1
	v_readlane_b32 s2, v6, s1
	s_lshl_b32 s1, 1, s1
	s_and_not1_b32 s0, s0, s1
	v_max_u64 v[4:5], v[4:5], s[2:3]
	s_cmp_lg_u32 s0, 0
	s_cbranch_scc1 .LBB9_24
; %bb.25:
	v_mbcnt_lo_u32_b32 v3, exec_lo, 0
	s_mov_b32 s0, exec_lo
	s_wait_xcnt 0x0
	s_delay_alu instid0(VALU_DEP_1)
	v_cmpx_eq_u32_e32 0, v3
	s_xor_b32 s0, exec_lo, s0
	s_cbranch_execz .LBB9_27
; %bb.26:
	v_mov_b32_e32 v3, 0
	global_atomic_max_u64 v3, v[4:5], s[6:7] scope:SCOPE_DEV
.LBB9_27:
	s_wait_xcnt 0x0
	s_or_b32 exec_lo, exec_lo, s0
	global_load_b64 v[0:1], v[0:1], off
	s_cmp_eq_u32 s11, 0
	s_cselect_b32 s0, -1, 0
	s_wait_loadcnt 0x0
	v_cmp_eq_u64_e32 vcc_lo, -1, v[0:1]
	s_and_b32 s0, s0, vcc_lo
	s_wait_xcnt 0x0
	s_and_b32 exec_lo, exec_lo, s0
	s_cbranch_execz .LBB9_32
; %bb.28:
	v_add_nc_u32_e32 v0, s10, v2
	s_mov_b32 s1, exec_lo
	s_brev_b32 s0, -2
.LBB9_29:                               ; =>This Inner Loop Header: Depth=1
	s_ctz_i32_b32 s2, s1
	s_delay_alu instid0(VALU_DEP_1) | instid1(SALU_CYCLE_1)
	v_readlane_b32 s3, v0, s2
	s_lshl_b32 s2, 1, s2
	s_delay_alu instid0(SALU_CYCLE_1)
	s_and_not1_b32 s1, s1, s2
	s_min_i32 s0, s0, s3
	s_cmp_lg_u32 s1, 0
	s_cbranch_scc1 .LBB9_29
; %bb.30:
	v_mbcnt_lo_u32_b32 v0, exec_lo, 0
	s_mov_b32 s1, exec_lo
	s_delay_alu instid0(VALU_DEP_1)
	v_cmpx_eq_u32_e32 0, v0
	s_xor_b32 s1, exec_lo, s1
	s_cbranch_execz .LBB9_32
; %bb.31:
	v_dual_mov_b32 v0, 0 :: v_dual_mov_b32 v1, s0
	global_atomic_min_i32 v0, v1, s[8:9] scope:SCOPE_DEV
.LBB9_32:
	s_endpgm
	.section	.rodata,"a",@progbits
	.p2align	6, 0x0
	.amdhsa_kernel _ZN9rocsparseL27csrsv_analysis_lower_kernelILj1024ELj32ELb0EliEEvT3_PKT2_PKS1_PS2_PiS7_PS1_21rocsparse_index_base_20rocsparse_diag_type_
		.amdhsa_group_segment_fixed_size 128
		.amdhsa_private_segment_fixed_size 0
		.amdhsa_kernarg_size 64
		.amdhsa_user_sgpr_count 2
		.amdhsa_user_sgpr_dispatch_ptr 0
		.amdhsa_user_sgpr_queue_ptr 0
		.amdhsa_user_sgpr_kernarg_segment_ptr 1
		.amdhsa_user_sgpr_dispatch_id 0
		.amdhsa_user_sgpr_kernarg_preload_length 0
		.amdhsa_user_sgpr_kernarg_preload_offset 0
		.amdhsa_user_sgpr_private_segment_size 0
		.amdhsa_wavefront_size32 1
		.amdhsa_uses_dynamic_stack 0
		.amdhsa_enable_private_segment 0
		.amdhsa_system_sgpr_workgroup_id_x 1
		.amdhsa_system_sgpr_workgroup_id_y 0
		.amdhsa_system_sgpr_workgroup_id_z 0
		.amdhsa_system_sgpr_workgroup_info 0
		.amdhsa_system_vgpr_workitem_id 0
		.amdhsa_next_free_vgpr 18
		.amdhsa_next_free_sgpr 19
		.amdhsa_named_barrier_count 0
		.amdhsa_reserve_vcc 1
		.amdhsa_float_round_mode_32 0
		.amdhsa_float_round_mode_16_64 0
		.amdhsa_float_denorm_mode_32 3
		.amdhsa_float_denorm_mode_16_64 3
		.amdhsa_fp16_overflow 0
		.amdhsa_memory_ordered 1
		.amdhsa_forward_progress 1
		.amdhsa_inst_pref_size 10
		.amdhsa_round_robin_scheduling 0
		.amdhsa_exception_fp_ieee_invalid_op 0
		.amdhsa_exception_fp_denorm_src 0
		.amdhsa_exception_fp_ieee_div_zero 0
		.amdhsa_exception_fp_ieee_overflow 0
		.amdhsa_exception_fp_ieee_underflow 0
		.amdhsa_exception_fp_ieee_inexact 0
		.amdhsa_exception_int_div_zero 0
	.end_amdhsa_kernel
	.section	.text._ZN9rocsparseL27csrsv_analysis_lower_kernelILj1024ELj32ELb0EliEEvT3_PKT2_PKS1_PS2_PiS7_PS1_21rocsparse_index_base_20rocsparse_diag_type_,"axG",@progbits,_ZN9rocsparseL27csrsv_analysis_lower_kernelILj1024ELj32ELb0EliEEvT3_PKT2_PKS1_PS2_PiS7_PS1_21rocsparse_index_base_20rocsparse_diag_type_,comdat
.Lfunc_end9:
	.size	_ZN9rocsparseL27csrsv_analysis_lower_kernelILj1024ELj32ELb0EliEEvT3_PKT2_PKS1_PS2_PiS7_PS1_21rocsparse_index_base_20rocsparse_diag_type_, .Lfunc_end9-_ZN9rocsparseL27csrsv_analysis_lower_kernelILj1024ELj32ELb0EliEEvT3_PKT2_PKS1_PS2_PiS7_PS1_21rocsparse_index_base_20rocsparse_diag_type_
                                        ; -- End function
	.set _ZN9rocsparseL27csrsv_analysis_lower_kernelILj1024ELj32ELb0EliEEvT3_PKT2_PKS1_PS2_PiS7_PS1_21rocsparse_index_base_20rocsparse_diag_type_.num_vgpr, 18
	.set _ZN9rocsparseL27csrsv_analysis_lower_kernelILj1024ELj32ELb0EliEEvT3_PKT2_PKS1_PS2_PiS7_PS1_21rocsparse_index_base_20rocsparse_diag_type_.num_agpr, 0
	.set _ZN9rocsparseL27csrsv_analysis_lower_kernelILj1024ELj32ELb0EliEEvT3_PKT2_PKS1_PS2_PiS7_PS1_21rocsparse_index_base_20rocsparse_diag_type_.numbered_sgpr, 19
	.set _ZN9rocsparseL27csrsv_analysis_lower_kernelILj1024ELj32ELb0EliEEvT3_PKT2_PKS1_PS2_PiS7_PS1_21rocsparse_index_base_20rocsparse_diag_type_.num_named_barrier, 0
	.set _ZN9rocsparseL27csrsv_analysis_lower_kernelILj1024ELj32ELb0EliEEvT3_PKT2_PKS1_PS2_PiS7_PS1_21rocsparse_index_base_20rocsparse_diag_type_.private_seg_size, 0
	.set _ZN9rocsparseL27csrsv_analysis_lower_kernelILj1024ELj32ELb0EliEEvT3_PKT2_PKS1_PS2_PiS7_PS1_21rocsparse_index_base_20rocsparse_diag_type_.uses_vcc, 1
	.set _ZN9rocsparseL27csrsv_analysis_lower_kernelILj1024ELj32ELb0EliEEvT3_PKT2_PKS1_PS2_PiS7_PS1_21rocsparse_index_base_20rocsparse_diag_type_.uses_flat_scratch, 0
	.set _ZN9rocsparseL27csrsv_analysis_lower_kernelILj1024ELj32ELb0EliEEvT3_PKT2_PKS1_PS2_PiS7_PS1_21rocsparse_index_base_20rocsparse_diag_type_.has_dyn_sized_stack, 0
	.set _ZN9rocsparseL27csrsv_analysis_lower_kernelILj1024ELj32ELb0EliEEvT3_PKT2_PKS1_PS2_PiS7_PS1_21rocsparse_index_base_20rocsparse_diag_type_.has_recursion, 0
	.set _ZN9rocsparseL27csrsv_analysis_lower_kernelILj1024ELj32ELb0EliEEvT3_PKT2_PKS1_PS2_PiS7_PS1_21rocsparse_index_base_20rocsparse_diag_type_.has_indirect_call, 0
	.section	.AMDGPU.csdata,"",@progbits
; Kernel info:
; codeLenInByte = 1240
; TotalNumSgprs: 21
; NumVgprs: 18
; ScratchSize: 0
; MemoryBound: 0
; FloatMode: 240
; IeeeMode: 1
; LDSByteSize: 128 bytes/workgroup (compile time only)
; SGPRBlocks: 0
; VGPRBlocks: 1
; NumSGPRsForWavesPerEU: 21
; NumVGPRsForWavesPerEU: 18
; NamedBarCnt: 0
; Occupancy: 16
; WaveLimiterHint : 1
; COMPUTE_PGM_RSRC2:SCRATCH_EN: 0
; COMPUTE_PGM_RSRC2:USER_SGPR: 2
; COMPUTE_PGM_RSRC2:TRAP_HANDLER: 0
; COMPUTE_PGM_RSRC2:TGID_X_EN: 1
; COMPUTE_PGM_RSRC2:TGID_Y_EN: 0
; COMPUTE_PGM_RSRC2:TGID_Z_EN: 0
; COMPUTE_PGM_RSRC2:TIDIG_COMP_CNT: 0
	.section	.text._ZN9rocsparseL27csrsv_analysis_upper_kernelILj1024ELj64ELb0EliEEvT3_PKT2_PKS1_PS2_PiS7_PS1_21rocsparse_index_base_20rocsparse_diag_type_,"axG",@progbits,_ZN9rocsparseL27csrsv_analysis_upper_kernelILj1024ELj64ELb0EliEEvT3_PKT2_PKS1_PS2_PiS7_PS1_21rocsparse_index_base_20rocsparse_diag_type_,comdat
	.globl	_ZN9rocsparseL27csrsv_analysis_upper_kernelILj1024ELj64ELb0EliEEvT3_PKT2_PKS1_PS2_PiS7_PS1_21rocsparse_index_base_20rocsparse_diag_type_ ; -- Begin function _ZN9rocsparseL27csrsv_analysis_upper_kernelILj1024ELj64ELb0EliEEvT3_PKT2_PKS1_PS2_PiS7_PS1_21rocsparse_index_base_20rocsparse_diag_type_
	.p2align	8
	.type	_ZN9rocsparseL27csrsv_analysis_upper_kernelILj1024ELj64ELb0EliEEvT3_PKT2_PKS1_PS2_PiS7_PS1_21rocsparse_index_base_20rocsparse_diag_type_,@function
_ZN9rocsparseL27csrsv_analysis_upper_kernelILj1024ELj64ELb0EliEEvT3_PKT2_PKS1_PS2_PiS7_PS1_21rocsparse_index_base_20rocsparse_diag_type_: ; @_ZN9rocsparseL27csrsv_analysis_upper_kernelILj1024ELj64ELb0EliEEvT3_PKT2_PKS1_PS2_PiS7_PS1_21rocsparse_index_base_20rocsparse_diag_type_
; %bb.0:
	s_load_b32 s14, s[0:1], 0x0
	s_bfe_u32 s2, ttmp6, 0x4000c
	s_and_b32 s3, ttmp6, 15
	s_add_co_i32 s2, s2, 1
	s_getreg_b32 s4, hwreg(HW_REG_IB_STS2, 6, 4)
	s_mul_i32 s2, ttmp9, s2
	v_dual_lshrrev_b32 v1, 6, v0 :: v_dual_mov_b32 v9, 0
	s_add_co_i32 s3, s3, s2
	s_cmp_eq_u32 s4, 0
	s_cselect_b32 s2, ttmp9, s3
	s_delay_alu instid0(SALU_CYCLE_1) | instskip(NEXT) | instid1(SALU_CYCLE_1)
	s_lshl_b32 s15, s2, 4
	s_not_b32 s2, s15
	s_wait_kmcnt 0x0
	s_add_co_i32 s16, s14, s2
	s_delay_alu instid0(SALU_CYCLE_1)
	v_dual_lshlrev_b32 v14, 2, v1 :: v_dual_sub_nc_u32 v2, s16, v1
	s_mov_b32 s2, exec_lo
	ds_store_b32 v14, v9
	s_wait_dscnt 0x0
	s_barrier_signal -1
	s_barrier_wait -1
	v_cmpx_lt_i32_e32 -1, v2
	s_cbranch_execz .LBB10_32
; %bb.1:
	s_clause 0x1
	s_load_b64 s[4:5], s[0:1], 0x18
	s_load_b64 s[2:3], s[0:1], 0x8
	v_dual_mov_b32 v3, v9 :: v_dual_bitop2_b32 v15, 63, v0 bitop3:0x40
	s_wait_kmcnt 0x0
	s_delay_alu instid0(VALU_DEP_1) | instskip(SKIP_1) | instid1(VALU_DEP_2)
	v_lshl_add_u64 v[0:1], v[2:3], 3, s[4:5]
	s_mov_b32 s4, exec_lo
	v_cmpx_eq_u32_e32 0, v15
	s_cbranch_execz .LBB10_3
; %bb.2:
	v_mov_b64_e32 v[4:5], -1
	global_store_b64 v[0:1], v[4:5], off
.LBB10_3:
	s_wait_xcnt 0x0
	s_or_b32 exec_lo, exec_lo, s4
	v_lshl_add_u64 v[4:5], v[2:3], 3, s[2:3]
	s_load_b256 s[4:11], s[0:1], 0x20
	v_not_b32_e32 v16, v15
	s_mov_b32 s3, 0
	global_load_b128 v[10:13], v[4:5], off
	v_ashrrev_i32_e32 v17, 31, v16
	s_wait_kmcnt 0x0
	s_mov_b32 s2, s10
	s_wait_loadcnt 0x0
	v_sub_nc_u64_e64 v[4:5], v[12:13], s[2:3]
	v_sub_nc_u64_e64 v[6:7], v[10:11], s[2:3]
	s_mov_b32 s2, exec_lo
	s_delay_alu instid0(VALU_DEP_2) | instskip(NEXT) | instid1(VALU_DEP_1)
	v_add_nc_u64_e32 v[12:13], v[4:5], v[16:17]
	v_cmpx_ge_i64_e64 v[12:13], v[6:7]
	s_cbranch_execz .LBB10_22
; %bb.4:
	s_load_b64 s[0:1], s[0:1], 0x10
	v_mov_b32_e32 v9, 0
	s_mov_b64 s[12:13], 0xffffffffffffffc0
                                        ; implicit-def: $sgpr17
                                        ; implicit-def: $sgpr19
                                        ; implicit-def: $sgpr18
	s_branch .LBB10_7
.LBB10_5:                               ;   in Loop: Header=BB10_7 Depth=1
	s_or_b32 exec_lo, exec_lo, s21
	v_add_nc_u64_e32 v[12:13], s[12:13], v[10:11]
	v_max_i32_e32 v9, v9, v16
	s_and_not1_b32 s19, s19, exec_lo
	s_and_not1_b32 s18, s18, exec_lo
	s_delay_alu instid0(VALU_DEP_2) | instskip(SKIP_1) | instid1(SALU_CYCLE_1)
	v_cmp_lt_i64_e32 vcc_lo, v[12:13], v[6:7]
	s_and_b32 s21, vcc_lo, exec_lo
	s_or_b32 s19, s19, s21
.LBB10_6:                               ;   in Loop: Header=BB10_7 Depth=1
	s_or_b32 exec_lo, exec_lo, s20
	s_delay_alu instid0(SALU_CYCLE_1) | instskip(NEXT) | instid1(SALU_CYCLE_1)
	s_and_b32 s20, exec_lo, s19
	s_or_b32 s3, s20, s3
	s_and_not1_b32 s17, s17, exec_lo
	s_and_b32 s20, s18, exec_lo
	s_delay_alu instid0(SALU_CYCLE_1)
	s_or_b32 s17, s17, s20
	s_and_not1_b32 exec_lo, exec_lo, s3
	s_cbranch_execz .LBB10_12
.LBB10_7:                               ; =>This Loop Header: Depth=1
                                        ;     Child Loop BB10_10 Depth 2
	v_mov_b64_e32 v[10:11], v[12:13]
	s_delay_alu instid0(VALU_DEP_2) | instskip(SKIP_4) | instid1(VALU_DEP_2)
	v_mov_b32_e32 v16, v9
	s_or_b32 s18, s18, exec_lo
	s_or_b32 s19, s19, exec_lo
	s_mov_b32 s20, exec_lo
                                        ; implicit-def: $vgpr9
	s_wait_kmcnt 0x0
	v_lshl_add_u64 v[12:13], v[10:11], 2, s[0:1]
	global_load_b32 v8, v[12:13], off th:TH_LOAD_NT
                                        ; implicit-def: $vgpr12_vgpr13
	s_wait_loadcnt 0x0
	v_subrev_nc_u32_e32 v8, s10, v8
	s_wait_xcnt 0x0
	s_delay_alu instid0(VALU_DEP_1)
	v_cmpx_lt_i32_e64 s16, v8
	s_cbranch_execz .LBB10_6
; %bb.8:                                ;   in Loop: Header=BB10_7 Depth=1
	global_load_b32 v9, v8, s[4:5] scale_offset scope:SCOPE_DEV
	s_mov_b32 s21, exec_lo
	s_wait_loadcnt 0x0
	v_cmpx_eq_u32_e32 0, v9
	s_cbranch_execz .LBB10_5
; %bb.9:                                ;   in Loop: Header=BB10_7 Depth=1
	v_ashrrev_i32_e32 v9, 31, v8
	s_mov_b32 s22, 0
	s_delay_alu instid0(VALU_DEP_1)
	v_lshl_add_u64 v[12:13], v[8:9], 2, s[4:5]
.LBB10_10:                              ;   Parent Loop BB10_7 Depth=1
                                        ; =>  This Inner Loop Header: Depth=2
	global_load_b32 v9, v[12:13], off scope:SCOPE_DEV
	s_wait_loadcnt 0x0
	v_cmp_ne_u32_e32 vcc_lo, 0, v9
	s_or_b32 s22, vcc_lo, s22
	s_wait_xcnt 0x0
	s_and_not1_b32 exec_lo, exec_lo, s22
	s_cbranch_execnz .LBB10_10
; %bb.11:                               ;   in Loop: Header=BB10_7 Depth=1
	s_or_b32 exec_lo, exec_lo, s22
	s_branch .LBB10_5
.LBB10_12:
	s_or_b32 exec_lo, exec_lo, s3
	s_and_saveexec_b32 s0, s17
	s_delay_alu instid0(SALU_CYCLE_1)
	s_xor_b32 s0, exec_lo, s0
	s_cbranch_execz .LBB10_21
; %bb.13:
	s_mov_b32 s1, exec_lo
	v_cmpx_eq_u32_e64 v8, v2
	s_cbranch_execz .LBB10_15
; %bb.14:
	global_store_b64 v[0:1], v[10:11], off
.LBB10_15:
	s_wait_xcnt 0x0
	s_or_b32 exec_lo, exec_lo, s1
	s_delay_alu instid0(SALU_CYCLE_1)
	s_mov_b32 s1, exec_lo
	v_cmpx_gt_i32_e64 v8, v2
	s_cbranch_execz .LBB10_20
; %bb.16:
	s_xor_b32 s3, s15, 0x3ffffff0
	s_mov_b32 s12, 0
	s_add_co_i32 s14, s14, s3
	s_mov_b32 s3, exec_lo
	v_sub_nc_u32_e32 v8, s14, v8
	s_delay_alu instid0(VALU_DEP_1)
	v_lshlrev_b32_e32 v9, 2, v8
	ds_load_b32 v8, v9 offset:60
	s_wait_dscnt 0x0
	v_cmpx_eq_u32_e32 0, v8
	s_cbranch_execz .LBB10_19
.LBB10_17:                              ; =>This Inner Loop Header: Depth=1
	ds_load_b32 v8, v9 offset:60
	s_wait_dscnt 0x0
	v_cmp_ne_u32_e32 vcc_lo, 0, v8
	s_or_b32 s12, vcc_lo, s12
	s_delay_alu instid0(SALU_CYCLE_1)
	s_and_not1_b32 exec_lo, exec_lo, s12
	s_cbranch_execnz .LBB10_17
; %bb.18:
	s_or_b32 exec_lo, exec_lo, s12
.LBB10_19:
	s_delay_alu instid0(SALU_CYCLE_1)
	s_or_b32 exec_lo, exec_lo, s3
	v_max_i32_e32 v16, v8, v16
.LBB10_20:
	s_or_b32 exec_lo, exec_lo, s1
	s_delay_alu instid0(VALU_DEP_1)
	v_mov_b32_e32 v9, v16
.LBB10_21:
	s_or_b32 exec_lo, exec_lo, s0
.LBB10_22:
	s_delay_alu instid0(SALU_CYCLE_1) | instskip(SKIP_2) | instid1(VALU_DEP_1)
	s_or_b32 exec_lo, exec_lo, s2
	v_mbcnt_lo_u32_b32 v8, -1, 0
	s_wait_storecnt 0x0
	v_xor_b32_e32 v11, 16, v8
	v_or_b32_e32 v10, 32, v8
	s_delay_alu instid0(VALU_DEP_1) | instskip(SKIP_1) | instid1(VALU_DEP_4)
	v_cmp_gt_i32_e32 vcc_lo, 32, v10
	v_cndmask_b32_e32 v10, v8, v10, vcc_lo
	v_cmp_gt_i32_e32 vcc_lo, 32, v11
	v_cndmask_b32_e32 v11, v8, v11, vcc_lo
	s_delay_alu instid0(VALU_DEP_1)
	v_dual_lshlrev_b32 v11, 2, v11 :: v_dual_lshlrev_b32 v10, 2, v10
	ds_bpermute_b32 v10, v10, v9
	s_wait_dscnt 0x0
	v_max_i32_e32 v9, v9, v10
	ds_bpermute_b32 v10, v11, v9
	v_xor_b32_e32 v11, 8, v8
	s_delay_alu instid0(VALU_DEP_1) | instskip(SKIP_2) | instid1(VALU_DEP_1)
	v_cmp_gt_i32_e32 vcc_lo, 32, v11
	v_cndmask_b32_e32 v11, v8, v11, vcc_lo
	s_wait_dscnt 0x0
	v_dual_lshlrev_b32 v11, 2, v11 :: v_dual_max_i32 v9, v9, v10
	ds_bpermute_b32 v10, v11, v9
	v_xor_b32_e32 v11, 4, v8
	s_delay_alu instid0(VALU_DEP_1) | instskip(SKIP_2) | instid1(VALU_DEP_1)
	v_cmp_gt_i32_e32 vcc_lo, 32, v11
	s_wait_dscnt 0x0
	v_dual_cndmask_b32 v11, v8, v11, vcc_lo :: v_dual_max_i32 v9, v9, v10
	v_lshlrev_b32_e32 v11, 2, v11
	ds_bpermute_b32 v10, v11, v9
	v_xor_b32_e32 v11, 2, v8
	s_delay_alu instid0(VALU_DEP_1) | instskip(SKIP_2) | instid1(VALU_DEP_1)
	v_cmp_gt_i32_e32 vcc_lo, 32, v11
	s_wait_dscnt 0x0
	v_dual_cndmask_b32 v11, v8, v11, vcc_lo :: v_dual_max_i32 v9, v9, v10
	v_lshlrev_b32_e32 v11, 2, v11
	ds_bpermute_b32 v10, v11, v9
	v_xor_b32_e32 v11, 1, v8
	s_delay_alu instid0(VALU_DEP_1) | instskip(SKIP_3) | instid1(VALU_DEP_2)
	v_cmp_gt_i32_e32 vcc_lo, 32, v11
	v_cndmask_b32_e32 v11, v8, v11, vcc_lo
	v_cmp_eq_u32_e32 vcc_lo, 63, v15
	s_wait_dscnt 0x0
	v_dual_lshlrev_b32 v9, 2, v11 :: v_dual_max_i32 v8, v9, v10
	ds_bpermute_b32 v9, v9, v8
	s_and_b32 exec_lo, exec_lo, vcc_lo
	s_cbranch_execz .LBB10_32
; %bb.23:
	s_wait_dscnt 0x0
	v_max_i32_e32 v8, v8, v9
	v_sub_nc_u64_e32 v[6:7], v[4:5], v[6:7]
	v_mov_b64_e32 v[4:5], 0
	s_mov_b32 s0, exec_lo
	s_delay_alu instid0(VALU_DEP_3)
	v_add_nc_u32_e32 v10, 1, v8
	v_lshl_add_u64 v[8:9], v[2:3], 2, s[4:5]
	ds_store_b32 v14, v10
	global_store_b32 v[8:9], v10, off scope:SCOPE_DEV
.LBB10_24:                              ; =>This Inner Loop Header: Depth=1
	s_ctz_i32_b32 s1, s0
	s_delay_alu instid0(SALU_CYCLE_1) | instskip(SKIP_2) | instid1(SALU_CYCLE_1)
	v_readlane_b32 s3, v7, s1
	v_readlane_b32 s2, v6, s1
	s_lshl_b32 s1, 1, s1
	s_and_not1_b32 s0, s0, s1
	v_max_u64 v[4:5], v[4:5], s[2:3]
	s_cmp_lg_u32 s0, 0
	s_cbranch_scc1 .LBB10_24
; %bb.25:
	v_mbcnt_lo_u32_b32 v3, exec_lo, 0
	s_mov_b32 s0, exec_lo
	s_wait_xcnt 0x0
	s_delay_alu instid0(VALU_DEP_1)
	v_cmpx_eq_u32_e32 0, v3
	s_xor_b32 s0, exec_lo, s0
	s_cbranch_execz .LBB10_27
; %bb.26:
	v_mov_b32_e32 v3, 0
	global_atomic_max_u64 v3, v[4:5], s[6:7] scope:SCOPE_DEV
.LBB10_27:
	s_wait_xcnt 0x0
	s_or_b32 exec_lo, exec_lo, s0
	global_load_b64 v[0:1], v[0:1], off
	s_cmp_eq_u32 s11, 0
	s_cselect_b32 s0, -1, 0
	s_wait_loadcnt 0x0
	v_cmp_eq_u64_e32 vcc_lo, -1, v[0:1]
	s_and_b32 s0, s0, vcc_lo
	s_wait_xcnt 0x0
	s_and_b32 exec_lo, exec_lo, s0
	s_cbranch_execz .LBB10_32
; %bb.28:
	v_add_nc_u32_e32 v0, s10, v2
	s_mov_b32 s1, exec_lo
	s_brev_b32 s0, -2
.LBB10_29:                              ; =>This Inner Loop Header: Depth=1
	s_ctz_i32_b32 s2, s1
	s_delay_alu instid0(VALU_DEP_1) | instid1(SALU_CYCLE_1)
	v_readlane_b32 s3, v0, s2
	s_lshl_b32 s2, 1, s2
	s_delay_alu instid0(SALU_CYCLE_1)
	s_and_not1_b32 s1, s1, s2
	s_min_i32 s0, s0, s3
	s_cmp_lg_u32 s1, 0
	s_cbranch_scc1 .LBB10_29
; %bb.30:
	v_mbcnt_lo_u32_b32 v0, exec_lo, 0
	s_mov_b32 s1, exec_lo
	s_delay_alu instid0(VALU_DEP_1)
	v_cmpx_eq_u32_e32 0, v0
	s_xor_b32 s1, exec_lo, s1
	s_cbranch_execz .LBB10_32
; %bb.31:
	v_dual_mov_b32 v0, 0 :: v_dual_mov_b32 v1, s0
	global_atomic_min_i32 v0, v1, s[8:9] scope:SCOPE_DEV
.LBB10_32:
	s_endpgm
	.section	.rodata,"a",@progbits
	.p2align	6, 0x0
	.amdhsa_kernel _ZN9rocsparseL27csrsv_analysis_upper_kernelILj1024ELj64ELb0EliEEvT3_PKT2_PKS1_PS2_PiS7_PS1_21rocsparse_index_base_20rocsparse_diag_type_
		.amdhsa_group_segment_fixed_size 64
		.amdhsa_private_segment_fixed_size 0
		.amdhsa_kernarg_size 64
		.amdhsa_user_sgpr_count 2
		.amdhsa_user_sgpr_dispatch_ptr 0
		.amdhsa_user_sgpr_queue_ptr 0
		.amdhsa_user_sgpr_kernarg_segment_ptr 1
		.amdhsa_user_sgpr_dispatch_id 0
		.amdhsa_user_sgpr_kernarg_preload_length 0
		.amdhsa_user_sgpr_kernarg_preload_offset 0
		.amdhsa_user_sgpr_private_segment_size 0
		.amdhsa_wavefront_size32 1
		.amdhsa_uses_dynamic_stack 0
		.amdhsa_enable_private_segment 0
		.amdhsa_system_sgpr_workgroup_id_x 1
		.amdhsa_system_sgpr_workgroup_id_y 0
		.amdhsa_system_sgpr_workgroup_id_z 0
		.amdhsa_system_sgpr_workgroup_info 0
		.amdhsa_system_vgpr_workitem_id 0
		.amdhsa_next_free_vgpr 18
		.amdhsa_next_free_sgpr 23
		.amdhsa_named_barrier_count 0
		.amdhsa_reserve_vcc 1
		.amdhsa_float_round_mode_32 0
		.amdhsa_float_round_mode_16_64 0
		.amdhsa_float_denorm_mode_32 3
		.amdhsa_float_denorm_mode_16_64 3
		.amdhsa_fp16_overflow 0
		.amdhsa_memory_ordered 1
		.amdhsa_forward_progress 1
		.amdhsa_inst_pref_size 11
		.amdhsa_round_robin_scheduling 0
		.amdhsa_exception_fp_ieee_invalid_op 0
		.amdhsa_exception_fp_denorm_src 0
		.amdhsa_exception_fp_ieee_div_zero 0
		.amdhsa_exception_fp_ieee_overflow 0
		.amdhsa_exception_fp_ieee_underflow 0
		.amdhsa_exception_fp_ieee_inexact 0
		.amdhsa_exception_int_div_zero 0
	.end_amdhsa_kernel
	.section	.text._ZN9rocsparseL27csrsv_analysis_upper_kernelILj1024ELj64ELb0EliEEvT3_PKT2_PKS1_PS2_PiS7_PS1_21rocsparse_index_base_20rocsparse_diag_type_,"axG",@progbits,_ZN9rocsparseL27csrsv_analysis_upper_kernelILj1024ELj64ELb0EliEEvT3_PKT2_PKS1_PS2_PiS7_PS1_21rocsparse_index_base_20rocsparse_diag_type_,comdat
.Lfunc_end10:
	.size	_ZN9rocsparseL27csrsv_analysis_upper_kernelILj1024ELj64ELb0EliEEvT3_PKT2_PKS1_PS2_PiS7_PS1_21rocsparse_index_base_20rocsparse_diag_type_, .Lfunc_end10-_ZN9rocsparseL27csrsv_analysis_upper_kernelILj1024ELj64ELb0EliEEvT3_PKT2_PKS1_PS2_PiS7_PS1_21rocsparse_index_base_20rocsparse_diag_type_
                                        ; -- End function
	.set _ZN9rocsparseL27csrsv_analysis_upper_kernelILj1024ELj64ELb0EliEEvT3_PKT2_PKS1_PS2_PiS7_PS1_21rocsparse_index_base_20rocsparse_diag_type_.num_vgpr, 18
	.set _ZN9rocsparseL27csrsv_analysis_upper_kernelILj1024ELj64ELb0EliEEvT3_PKT2_PKS1_PS2_PiS7_PS1_21rocsparse_index_base_20rocsparse_diag_type_.num_agpr, 0
	.set _ZN9rocsparseL27csrsv_analysis_upper_kernelILj1024ELj64ELb0EliEEvT3_PKT2_PKS1_PS2_PiS7_PS1_21rocsparse_index_base_20rocsparse_diag_type_.numbered_sgpr, 23
	.set _ZN9rocsparseL27csrsv_analysis_upper_kernelILj1024ELj64ELb0EliEEvT3_PKT2_PKS1_PS2_PiS7_PS1_21rocsparse_index_base_20rocsparse_diag_type_.num_named_barrier, 0
	.set _ZN9rocsparseL27csrsv_analysis_upper_kernelILj1024ELj64ELb0EliEEvT3_PKT2_PKS1_PS2_PiS7_PS1_21rocsparse_index_base_20rocsparse_diag_type_.private_seg_size, 0
	.set _ZN9rocsparseL27csrsv_analysis_upper_kernelILj1024ELj64ELb0EliEEvT3_PKT2_PKS1_PS2_PiS7_PS1_21rocsparse_index_base_20rocsparse_diag_type_.uses_vcc, 1
	.set _ZN9rocsparseL27csrsv_analysis_upper_kernelILj1024ELj64ELb0EliEEvT3_PKT2_PKS1_PS2_PiS7_PS1_21rocsparse_index_base_20rocsparse_diag_type_.uses_flat_scratch, 0
	.set _ZN9rocsparseL27csrsv_analysis_upper_kernelILj1024ELj64ELb0EliEEvT3_PKT2_PKS1_PS2_PiS7_PS1_21rocsparse_index_base_20rocsparse_diag_type_.has_dyn_sized_stack, 0
	.set _ZN9rocsparseL27csrsv_analysis_upper_kernelILj1024ELj64ELb0EliEEvT3_PKT2_PKS1_PS2_PiS7_PS1_21rocsparse_index_base_20rocsparse_diag_type_.has_recursion, 0
	.set _ZN9rocsparseL27csrsv_analysis_upper_kernelILj1024ELj64ELb0EliEEvT3_PKT2_PKS1_PS2_PiS7_PS1_21rocsparse_index_base_20rocsparse_diag_type_.has_indirect_call, 0
	.section	.AMDGPU.csdata,"",@progbits
; Kernel info:
; codeLenInByte = 1328
; TotalNumSgprs: 25
; NumVgprs: 18
; ScratchSize: 0
; MemoryBound: 0
; FloatMode: 240
; IeeeMode: 1
; LDSByteSize: 64 bytes/workgroup (compile time only)
; SGPRBlocks: 0
; VGPRBlocks: 1
; NumSGPRsForWavesPerEU: 25
; NumVGPRsForWavesPerEU: 18
; NamedBarCnt: 0
; Occupancy: 16
; WaveLimiterHint : 1
; COMPUTE_PGM_RSRC2:SCRATCH_EN: 0
; COMPUTE_PGM_RSRC2:USER_SGPR: 2
; COMPUTE_PGM_RSRC2:TRAP_HANDLER: 0
; COMPUTE_PGM_RSRC2:TGID_X_EN: 1
; COMPUTE_PGM_RSRC2:TGID_Y_EN: 0
; COMPUTE_PGM_RSRC2:TGID_Z_EN: 0
; COMPUTE_PGM_RSRC2:TIDIG_COMP_CNT: 0
	.section	.text._ZN9rocsparseL27csrsv_analysis_lower_kernelILj1024ELj64ELb0EliEEvT3_PKT2_PKS1_PS2_PiS7_PS1_21rocsparse_index_base_20rocsparse_diag_type_,"axG",@progbits,_ZN9rocsparseL27csrsv_analysis_lower_kernelILj1024ELj64ELb0EliEEvT3_PKT2_PKS1_PS2_PiS7_PS1_21rocsparse_index_base_20rocsparse_diag_type_,comdat
	.globl	_ZN9rocsparseL27csrsv_analysis_lower_kernelILj1024ELj64ELb0EliEEvT3_PKT2_PKS1_PS2_PiS7_PS1_21rocsparse_index_base_20rocsparse_diag_type_ ; -- Begin function _ZN9rocsparseL27csrsv_analysis_lower_kernelILj1024ELj64ELb0EliEEvT3_PKT2_PKS1_PS2_PiS7_PS1_21rocsparse_index_base_20rocsparse_diag_type_
	.p2align	8
	.type	_ZN9rocsparseL27csrsv_analysis_lower_kernelILj1024ELj64ELb0EliEEvT3_PKT2_PKS1_PS2_PiS7_PS1_21rocsparse_index_base_20rocsparse_diag_type_,@function
_ZN9rocsparseL27csrsv_analysis_lower_kernelILj1024ELj64ELb0EliEEvT3_PKT2_PKS1_PS2_PiS7_PS1_21rocsparse_index_base_20rocsparse_diag_type_: ; @_ZN9rocsparseL27csrsv_analysis_lower_kernelILj1024ELj64ELb0EliEEvT3_PKT2_PKS1_PS2_PiS7_PS1_21rocsparse_index_base_20rocsparse_diag_type_
; %bb.0:
	s_load_b32 s2, s[0:1], 0x0
	s_bfe_u32 s3, ttmp6, 0x4000c
	s_and_b32 s4, ttmp6, 15
	s_add_co_i32 s3, s3, 1
	s_getreg_b32 s5, hwreg(HW_REG_IB_STS2, 6, 4)
	s_mul_i32 s3, ttmp9, s3
	v_dual_lshrrev_b32 v1, 6, v0 :: v_dual_mov_b32 v3, 0
	s_add_co_i32 s4, s4, s3
	s_cmp_eq_u32 s5, 0
	s_cselect_b32 s3, ttmp9, s4
	s_delay_alu instid0(SALU_CYCLE_1) | instskip(NEXT) | instid1(SALU_CYCLE_1)
	s_lshl_b32 s12, s3, 4
	v_dual_lshlrev_b32 v16, 2, v1 :: v_dual_bitop2_b32 v2, s12, v1 bitop3:0x54
	ds_store_b32 v16, v3
	s_wait_kmcnt 0x0
	v_cmp_gt_i32_e32 vcc_lo, s2, v2
	s_wait_dscnt 0x0
	s_barrier_signal -1
	s_barrier_wait -1
	s_and_saveexec_b32 s2, vcc_lo
	s_cbranch_execz .LBB11_32
; %bb.1:
	s_clause 0x1
	s_load_b64 s[4:5], s[0:1], 0x18
	s_load_b64 s[2:3], s[0:1], 0x8
	v_dual_ashrrev_i32 v3, 31, v2 :: v_dual_bitop2_b32 v4, 63, v0 bitop3:0x40
	s_wait_kmcnt 0x0
	s_delay_alu instid0(VALU_DEP_1) | instskip(SKIP_1) | instid1(VALU_DEP_2)
	v_lshl_add_u64 v[0:1], v[2:3], 3, s[4:5]
	s_mov_b32 s4, exec_lo
	v_cmpx_eq_u32_e32 0, v4
	s_cbranch_execz .LBB11_3
; %bb.2:
	v_mov_b64_e32 v[6:7], -1
	global_store_b64 v[0:1], v[6:7], off
.LBB11_3:
	s_wait_xcnt 0x0
	s_or_b32 exec_lo, exec_lo, s4
	v_lshl_add_u64 v[6:7], v[2:3], 3, s[2:3]
	s_load_b256 s[4:11], s[0:1], 0x20
	s_mov_b32 s3, 0
	v_mov_b32_e32 v5, 0
	global_load_b128 v[6:9], v[6:7], off
	s_wait_kmcnt 0x0
	s_mov_b32 s2, s10
	s_wait_loadcnt 0x0
	v_sub_nc_u64_e64 v[6:7], v[6:7], s[2:3]
	v_sub_nc_u64_e64 v[8:9], v[8:9], s[2:3]
	s_mov_b32 s2, exec_lo
	s_delay_alu instid0(VALU_DEP_2) | instskip(NEXT) | instid1(VALU_DEP_1)
	v_add_nc_u64_e32 v[14:15], v[6:7], v[4:5]
	v_cmpx_lt_i64_e64 v[14:15], v[8:9]
	s_cbranch_execz .LBB11_22
; %bb.4:
	s_load_b64 s[0:1], s[0:1], 0x10
	v_mov_b32_e32 v5, 0
                                        ; implicit-def: $sgpr13
                                        ; implicit-def: $sgpr15
                                        ; implicit-def: $sgpr14
	s_branch .LBB11_7
.LBB11_5:                               ;   in Loop: Header=BB11_7 Depth=1
	s_or_b32 exec_lo, exec_lo, s17
	v_add_nc_u64_e32 v[14:15], 64, v[12:13]
	v_max_i32_e32 v5, v5, v17
	s_and_not1_b32 s15, s15, exec_lo
	s_and_not1_b32 s14, s14, exec_lo
	s_delay_alu instid0(VALU_DEP_2) | instskip(SKIP_1) | instid1(SALU_CYCLE_1)
	v_cmp_ge_i64_e32 vcc_lo, v[14:15], v[8:9]
	s_and_b32 s17, vcc_lo, exec_lo
	s_or_b32 s15, s15, s17
.LBB11_6:                               ;   in Loop: Header=BB11_7 Depth=1
	s_or_b32 exec_lo, exec_lo, s16
	s_delay_alu instid0(SALU_CYCLE_1) | instskip(NEXT) | instid1(SALU_CYCLE_1)
	s_and_b32 s16, exec_lo, s15
	s_or_b32 s3, s16, s3
	s_and_not1_b32 s13, s13, exec_lo
	s_and_b32 s16, s14, exec_lo
	s_delay_alu instid0(SALU_CYCLE_1)
	s_or_b32 s13, s13, s16
	s_and_not1_b32 exec_lo, exec_lo, s3
	s_cbranch_execz .LBB11_12
.LBB11_7:                               ; =>This Loop Header: Depth=1
                                        ;     Child Loop BB11_10 Depth 2
	v_mov_b64_e32 v[12:13], v[14:15]
	s_delay_alu instid0(VALU_DEP_2) | instskip(SKIP_4) | instid1(VALU_DEP_2)
	v_mov_b32_e32 v17, v5
	s_or_b32 s14, s14, exec_lo
	s_or_b32 s15, s15, exec_lo
	s_mov_b32 s16, exec_lo
                                        ; implicit-def: $vgpr14_vgpr15
	s_wait_kmcnt 0x0
	v_lshl_add_u64 v[10:11], v[12:13], 2, s[0:1]
	global_load_b32 v10, v[10:11], off th:TH_LOAD_NT
	s_wait_loadcnt 0x0
	v_subrev_nc_u32_e32 v10, s10, v10
	s_delay_alu instid0(VALU_DEP_1)
	v_cmpx_gt_i32_e64 s12, v10
	s_cbranch_execz .LBB11_6
; %bb.8:                                ;   in Loop: Header=BB11_7 Depth=1
	global_load_b32 v5, v10, s[4:5] scale_offset scope:SCOPE_DEV
	s_mov_b32 s17, exec_lo
	s_wait_loadcnt 0x0
	v_cmpx_eq_u32_e32 0, v5
	s_cbranch_execz .LBB11_5
; %bb.9:                                ;   in Loop: Header=BB11_7 Depth=1
	v_ashrrev_i32_e32 v11, 31, v10
	s_mov_b32 s18, 0
	s_delay_alu instid0(VALU_DEP_1)
	v_lshl_add_u64 v[14:15], v[10:11], 2, s[4:5]
.LBB11_10:                              ;   Parent Loop BB11_7 Depth=1
                                        ; =>  This Inner Loop Header: Depth=2
	global_load_b32 v5, v[14:15], off scope:SCOPE_DEV
	s_wait_loadcnt 0x0
	v_cmp_ne_u32_e32 vcc_lo, 0, v5
	s_or_b32 s18, vcc_lo, s18
	s_wait_xcnt 0x0
	s_and_not1_b32 exec_lo, exec_lo, s18
	s_cbranch_execnz .LBB11_10
; %bb.11:                               ;   in Loop: Header=BB11_7 Depth=1
	s_or_b32 exec_lo, exec_lo, s18
	s_branch .LBB11_5
.LBB11_12:
	s_or_b32 exec_lo, exec_lo, s3
	s_and_saveexec_b32 s0, s13
	s_delay_alu instid0(SALU_CYCLE_1)
	s_xor_b32 s0, exec_lo, s0
	s_cbranch_execz .LBB11_21
; %bb.13:
	s_mov_b32 s1, exec_lo
	v_cmpx_eq_u32_e64 v10, v2
	s_cbranch_execz .LBB11_15
; %bb.14:
	global_store_b64 v[0:1], v[12:13], off
.LBB11_15:
	s_wait_xcnt 0x0
	s_or_b32 exec_lo, exec_lo, s1
	s_delay_alu instid0(SALU_CYCLE_1)
	s_mov_b32 s1, exec_lo
	v_cmpx_lt_i32_e64 v10, v2
	s_cbranch_execz .LBB11_20
; %bb.16:
	v_subrev_nc_u32_e32 v5, s12, v10
	s_mov_b32 s12, 0
	s_mov_b32 s3, exec_lo
	s_delay_alu instid0(VALU_DEP_1)
	v_lshlrev_b32_e32 v10, 2, v5
	ds_load_b32 v5, v10
	s_wait_dscnt 0x0
	v_cmpx_eq_u32_e32 0, v5
	s_cbranch_execz .LBB11_19
.LBB11_17:                              ; =>This Inner Loop Header: Depth=1
	ds_load_b32 v5, v10
	s_wait_dscnt 0x0
	v_cmp_ne_u32_e32 vcc_lo, 0, v5
	s_or_b32 s12, vcc_lo, s12
	s_delay_alu instid0(SALU_CYCLE_1)
	s_and_not1_b32 exec_lo, exec_lo, s12
	s_cbranch_execnz .LBB11_17
; %bb.18:
	s_or_b32 exec_lo, exec_lo, s12
.LBB11_19:
	s_delay_alu instid0(SALU_CYCLE_1)
	s_or_b32 exec_lo, exec_lo, s3
	v_max_i32_e32 v17, v5, v17
.LBB11_20:
	s_or_b32 exec_lo, exec_lo, s1
	s_delay_alu instid0(VALU_DEP_1)
	v_mov_b32_e32 v5, v17
.LBB11_21:
	s_or_b32 exec_lo, exec_lo, s0
.LBB11_22:
	s_delay_alu instid0(SALU_CYCLE_1) | instskip(SKIP_2) | instid1(VALU_DEP_1)
	s_or_b32 exec_lo, exec_lo, s2
	v_mbcnt_lo_u32_b32 v10, -1, 0
	s_wait_storecnt 0x0
	v_xor_b32_e32 v12, 16, v10
	v_or_b32_e32 v11, 32, v10
	s_delay_alu instid0(VALU_DEP_1) | instskip(SKIP_1) | instid1(VALU_DEP_4)
	v_cmp_gt_i32_e32 vcc_lo, 32, v11
	v_cndmask_b32_e32 v11, v10, v11, vcc_lo
	v_cmp_gt_i32_e32 vcc_lo, 32, v12
	v_cndmask_b32_e32 v12, v10, v12, vcc_lo
	s_delay_alu instid0(VALU_DEP_1)
	v_dual_lshlrev_b32 v12, 2, v12 :: v_dual_lshlrev_b32 v11, 2, v11
	ds_bpermute_b32 v11, v11, v5
	s_wait_dscnt 0x0
	v_max_i32_e32 v5, v5, v11
	ds_bpermute_b32 v11, v12, v5
	v_xor_b32_e32 v12, 8, v10
	s_delay_alu instid0(VALU_DEP_1) | instskip(SKIP_2) | instid1(VALU_DEP_1)
	v_cmp_gt_i32_e32 vcc_lo, 32, v12
	v_cndmask_b32_e32 v12, v10, v12, vcc_lo
	s_wait_dscnt 0x0
	v_dual_lshlrev_b32 v12, 2, v12 :: v_dual_max_i32 v5, v5, v11
	ds_bpermute_b32 v11, v12, v5
	v_xor_b32_e32 v12, 4, v10
	s_delay_alu instid0(VALU_DEP_1) | instskip(SKIP_2) | instid1(VALU_DEP_1)
	v_cmp_gt_i32_e32 vcc_lo, 32, v12
	s_wait_dscnt 0x0
	v_dual_cndmask_b32 v12, v10, v12 :: v_dual_max_i32 v5, v5, v11
	v_lshlrev_b32_e32 v12, 2, v12
	ds_bpermute_b32 v11, v12, v5
	v_xor_b32_e32 v12, 2, v10
	s_delay_alu instid0(VALU_DEP_1) | instskip(SKIP_2) | instid1(VALU_DEP_1)
	v_cmp_gt_i32_e32 vcc_lo, 32, v12
	s_wait_dscnt 0x0
	v_dual_cndmask_b32 v12, v10, v12 :: v_dual_max_i32 v5, v5, v11
	v_lshlrev_b32_e32 v12, 2, v12
	ds_bpermute_b32 v11, v12, v5
	v_xor_b32_e32 v12, 1, v10
	s_delay_alu instid0(VALU_DEP_1) | instskip(SKIP_3) | instid1(VALU_DEP_2)
	v_cmp_gt_i32_e32 vcc_lo, 32, v12
	v_cndmask_b32_e32 v10, v10, v12, vcc_lo
	v_cmp_eq_u32_e32 vcc_lo, 63, v4
	s_wait_dscnt 0x0
	v_dual_lshlrev_b32 v10, 2, v10 :: v_dual_max_i32 v5, v5, v11
	ds_bpermute_b32 v10, v10, v5
	s_and_b32 exec_lo, exec_lo, vcc_lo
	s_cbranch_execz .LBB11_32
; %bb.23:
	s_wait_dscnt 0x0
	v_max_i32_e32 v10, v5, v10
	v_sub_nc_u64_e32 v[6:7], v[8:9], v[6:7]
	v_mov_b64_e32 v[4:5], 0
	v_lshl_add_u64 v[8:9], v[2:3], 2, s[4:5]
	s_mov_b32 s0, exec_lo
	v_add_nc_u32_e32 v10, 1, v10
	ds_store_b32 v16, v10
	global_store_b32 v[8:9], v10, off scope:SCOPE_DEV
.LBB11_24:                              ; =>This Inner Loop Header: Depth=1
	s_ctz_i32_b32 s1, s0
	s_delay_alu instid0(SALU_CYCLE_1) | instskip(SKIP_2) | instid1(SALU_CYCLE_1)
	v_readlane_b32 s3, v7, s1
	v_readlane_b32 s2, v6, s1
	s_lshl_b32 s1, 1, s1
	s_and_not1_b32 s0, s0, s1
	v_max_u64 v[4:5], v[4:5], s[2:3]
	s_cmp_lg_u32 s0, 0
	s_cbranch_scc1 .LBB11_24
; %bb.25:
	v_mbcnt_lo_u32_b32 v3, exec_lo, 0
	s_mov_b32 s0, exec_lo
	s_wait_xcnt 0x0
	s_delay_alu instid0(VALU_DEP_1)
	v_cmpx_eq_u32_e32 0, v3
	s_xor_b32 s0, exec_lo, s0
	s_cbranch_execz .LBB11_27
; %bb.26:
	v_mov_b32_e32 v3, 0
	global_atomic_max_u64 v3, v[4:5], s[6:7] scope:SCOPE_DEV
.LBB11_27:
	s_wait_xcnt 0x0
	s_or_b32 exec_lo, exec_lo, s0
	global_load_b64 v[0:1], v[0:1], off
	s_cmp_eq_u32 s11, 0
	s_cselect_b32 s0, -1, 0
	s_wait_loadcnt 0x0
	v_cmp_eq_u64_e32 vcc_lo, -1, v[0:1]
	s_and_b32 s0, s0, vcc_lo
	s_wait_xcnt 0x0
	s_and_b32 exec_lo, exec_lo, s0
	s_cbranch_execz .LBB11_32
; %bb.28:
	v_add_nc_u32_e32 v0, s10, v2
	s_mov_b32 s1, exec_lo
	s_brev_b32 s0, -2
.LBB11_29:                              ; =>This Inner Loop Header: Depth=1
	s_ctz_i32_b32 s2, s1
	s_delay_alu instid0(VALU_DEP_1) | instid1(SALU_CYCLE_1)
	v_readlane_b32 s3, v0, s2
	s_lshl_b32 s2, 1, s2
	s_delay_alu instid0(SALU_CYCLE_1)
	s_and_not1_b32 s1, s1, s2
	s_min_i32 s0, s0, s3
	s_cmp_lg_u32 s1, 0
	s_cbranch_scc1 .LBB11_29
; %bb.30:
	v_mbcnt_lo_u32_b32 v0, exec_lo, 0
	s_mov_b32 s1, exec_lo
	s_delay_alu instid0(VALU_DEP_1)
	v_cmpx_eq_u32_e32 0, v0
	s_xor_b32 s1, exec_lo, s1
	s_cbranch_execz .LBB11_32
; %bb.31:
	v_dual_mov_b32 v0, 0 :: v_dual_mov_b32 v1, s0
	global_atomic_min_i32 v0, v1, s[8:9] scope:SCOPE_DEV
.LBB11_32:
	s_endpgm
	.section	.rodata,"a",@progbits
	.p2align	6, 0x0
	.amdhsa_kernel _ZN9rocsparseL27csrsv_analysis_lower_kernelILj1024ELj64ELb0EliEEvT3_PKT2_PKS1_PS2_PiS7_PS1_21rocsparse_index_base_20rocsparse_diag_type_
		.amdhsa_group_segment_fixed_size 64
		.amdhsa_private_segment_fixed_size 0
		.amdhsa_kernarg_size 64
		.amdhsa_user_sgpr_count 2
		.amdhsa_user_sgpr_dispatch_ptr 0
		.amdhsa_user_sgpr_queue_ptr 0
		.amdhsa_user_sgpr_kernarg_segment_ptr 1
		.amdhsa_user_sgpr_dispatch_id 0
		.amdhsa_user_sgpr_kernarg_preload_length 0
		.amdhsa_user_sgpr_kernarg_preload_offset 0
		.amdhsa_user_sgpr_private_segment_size 0
		.amdhsa_wavefront_size32 1
		.amdhsa_uses_dynamic_stack 0
		.amdhsa_enable_private_segment 0
		.amdhsa_system_sgpr_workgroup_id_x 1
		.amdhsa_system_sgpr_workgroup_id_y 0
		.amdhsa_system_sgpr_workgroup_id_z 0
		.amdhsa_system_sgpr_workgroup_info 0
		.amdhsa_system_vgpr_workitem_id 0
		.amdhsa_next_free_vgpr 18
		.amdhsa_next_free_sgpr 19
		.amdhsa_named_barrier_count 0
		.amdhsa_reserve_vcc 1
		.amdhsa_float_round_mode_32 0
		.amdhsa_float_round_mode_16_64 0
		.amdhsa_float_denorm_mode_32 3
		.amdhsa_float_denorm_mode_16_64 3
		.amdhsa_fp16_overflow 0
		.amdhsa_memory_ordered 1
		.amdhsa_forward_progress 1
		.amdhsa_inst_pref_size 10
		.amdhsa_round_robin_scheduling 0
		.amdhsa_exception_fp_ieee_invalid_op 0
		.amdhsa_exception_fp_denorm_src 0
		.amdhsa_exception_fp_ieee_div_zero 0
		.amdhsa_exception_fp_ieee_overflow 0
		.amdhsa_exception_fp_ieee_underflow 0
		.amdhsa_exception_fp_ieee_inexact 0
		.amdhsa_exception_int_div_zero 0
	.end_amdhsa_kernel
	.section	.text._ZN9rocsparseL27csrsv_analysis_lower_kernelILj1024ELj64ELb0EliEEvT3_PKT2_PKS1_PS2_PiS7_PS1_21rocsparse_index_base_20rocsparse_diag_type_,"axG",@progbits,_ZN9rocsparseL27csrsv_analysis_lower_kernelILj1024ELj64ELb0EliEEvT3_PKT2_PKS1_PS2_PiS7_PS1_21rocsparse_index_base_20rocsparse_diag_type_,comdat
.Lfunc_end11:
	.size	_ZN9rocsparseL27csrsv_analysis_lower_kernelILj1024ELj64ELb0EliEEvT3_PKT2_PKS1_PS2_PiS7_PS1_21rocsparse_index_base_20rocsparse_diag_type_, .Lfunc_end11-_ZN9rocsparseL27csrsv_analysis_lower_kernelILj1024ELj64ELb0EliEEvT3_PKT2_PKS1_PS2_PiS7_PS1_21rocsparse_index_base_20rocsparse_diag_type_
                                        ; -- End function
	.set _ZN9rocsparseL27csrsv_analysis_lower_kernelILj1024ELj64ELb0EliEEvT3_PKT2_PKS1_PS2_PiS7_PS1_21rocsparse_index_base_20rocsparse_diag_type_.num_vgpr, 18
	.set _ZN9rocsparseL27csrsv_analysis_lower_kernelILj1024ELj64ELb0EliEEvT3_PKT2_PKS1_PS2_PiS7_PS1_21rocsparse_index_base_20rocsparse_diag_type_.num_agpr, 0
	.set _ZN9rocsparseL27csrsv_analysis_lower_kernelILj1024ELj64ELb0EliEEvT3_PKT2_PKS1_PS2_PiS7_PS1_21rocsparse_index_base_20rocsparse_diag_type_.numbered_sgpr, 19
	.set _ZN9rocsparseL27csrsv_analysis_lower_kernelILj1024ELj64ELb0EliEEvT3_PKT2_PKS1_PS2_PiS7_PS1_21rocsparse_index_base_20rocsparse_diag_type_.num_named_barrier, 0
	.set _ZN9rocsparseL27csrsv_analysis_lower_kernelILj1024ELj64ELb0EliEEvT3_PKT2_PKS1_PS2_PiS7_PS1_21rocsparse_index_base_20rocsparse_diag_type_.private_seg_size, 0
	.set _ZN9rocsparseL27csrsv_analysis_lower_kernelILj1024ELj64ELb0EliEEvT3_PKT2_PKS1_PS2_PiS7_PS1_21rocsparse_index_base_20rocsparse_diag_type_.uses_vcc, 1
	.set _ZN9rocsparseL27csrsv_analysis_lower_kernelILj1024ELj64ELb0EliEEvT3_PKT2_PKS1_PS2_PiS7_PS1_21rocsparse_index_base_20rocsparse_diag_type_.uses_flat_scratch, 0
	.set _ZN9rocsparseL27csrsv_analysis_lower_kernelILj1024ELj64ELb0EliEEvT3_PKT2_PKS1_PS2_PiS7_PS1_21rocsparse_index_base_20rocsparse_diag_type_.has_dyn_sized_stack, 0
	.set _ZN9rocsparseL27csrsv_analysis_lower_kernelILj1024ELj64ELb0EliEEvT3_PKT2_PKS1_PS2_PiS7_PS1_21rocsparse_index_base_20rocsparse_diag_type_.has_recursion, 0
	.set _ZN9rocsparseL27csrsv_analysis_lower_kernelILj1024ELj64ELb0EliEEvT3_PKT2_PKS1_PS2_PiS7_PS1_21rocsparse_index_base_20rocsparse_diag_type_.has_indirect_call, 0
	.section	.AMDGPU.csdata,"",@progbits
; Kernel info:
; codeLenInByte = 1276
; TotalNumSgprs: 21
; NumVgprs: 18
; ScratchSize: 0
; MemoryBound: 0
; FloatMode: 240
; IeeeMode: 1
; LDSByteSize: 64 bytes/workgroup (compile time only)
; SGPRBlocks: 0
; VGPRBlocks: 1
; NumSGPRsForWavesPerEU: 21
; NumVGPRsForWavesPerEU: 18
; NamedBarCnt: 0
; Occupancy: 16
; WaveLimiterHint : 1
; COMPUTE_PGM_RSRC2:SCRATCH_EN: 0
; COMPUTE_PGM_RSRC2:USER_SGPR: 2
; COMPUTE_PGM_RSRC2:TRAP_HANDLER: 0
; COMPUTE_PGM_RSRC2:TGID_X_EN: 1
; COMPUTE_PGM_RSRC2:TGID_Y_EN: 0
; COMPUTE_PGM_RSRC2:TGID_Z_EN: 0
; COMPUTE_PGM_RSRC2:TIDIG_COMP_CNT: 0
	.section	.text._ZN9rocsparseL27csrsv_analysis_upper_kernelILj1024ELj64ELb1EllEEvT3_PKT2_PKS1_PS2_PiS7_PS1_21rocsparse_index_base_20rocsparse_diag_type_,"axG",@progbits,_ZN9rocsparseL27csrsv_analysis_upper_kernelILj1024ELj64ELb1EllEEvT3_PKT2_PKS1_PS2_PiS7_PS1_21rocsparse_index_base_20rocsparse_diag_type_,comdat
	.globl	_ZN9rocsparseL27csrsv_analysis_upper_kernelILj1024ELj64ELb1EllEEvT3_PKT2_PKS1_PS2_PiS7_PS1_21rocsparse_index_base_20rocsparse_diag_type_ ; -- Begin function _ZN9rocsparseL27csrsv_analysis_upper_kernelILj1024ELj64ELb1EllEEvT3_PKT2_PKS1_PS2_PiS7_PS1_21rocsparse_index_base_20rocsparse_diag_type_
	.p2align	8
	.type	_ZN9rocsparseL27csrsv_analysis_upper_kernelILj1024ELj64ELb1EllEEvT3_PKT2_PKS1_PS2_PiS7_PS1_21rocsparse_index_base_20rocsparse_diag_type_,@function
_ZN9rocsparseL27csrsv_analysis_upper_kernelILj1024ELj64ELb1EllEEvT3_PKT2_PKS1_PS2_PiS7_PS1_21rocsparse_index_base_20rocsparse_diag_type_: ; @_ZN9rocsparseL27csrsv_analysis_upper_kernelILj1024ELj64ELb1EllEEvT3_PKT2_PKS1_PS2_PiS7_PS1_21rocsparse_index_base_20rocsparse_diag_type_
; %bb.0:
	s_load_b64 s[12:13], s[0:1], 0x0
	s_bfe_u32 s2, ttmp6, 0x4000c
	s_and_b32 s3, ttmp6, 15
	s_add_co_i32 s2, s2, 1
	s_getreg_b32 s4, hwreg(HW_REG_IB_STS2, 6, 4)
	s_mul_i32 s2, ttmp9, s2
	s_mov_b32 s15, 0
	s_add_co_i32 s3, s3, s2
	s_cmp_eq_u32 s4, 0
	v_dual_mov_b32 v5, 0 :: v_dual_lshrrev_b32 v4, 6, v0
	s_cselect_b32 s2, ttmp9, s3
	s_delay_alu instid0(SALU_CYCLE_1) | instskip(NEXT) | instid1(VALU_DEP_1)
	s_lshl_b32 s14, s2, 4
	v_lshlrev_b32_e32 v14, 2, v4
	s_not_b64 s[2:3], s[14:15]
	ds_store_b32 v14, v5
	s_wait_kmcnt 0x0
	s_add_nc_u64 s[16:17], s[12:13], s[2:3]
	s_wait_dscnt 0x0
	v_sub_nc_u64_e32 v[2:3], s[16:17], v[4:5]
	s_barrier_signal -1
	s_barrier_wait -1
	s_mov_b32 s2, exec_lo
	s_delay_alu instid0(VALU_DEP_1)
	v_cmpx_lt_i64_e32 -1, v[2:3]
	s_cbranch_execz .LBB12_37
; %bb.1:
	s_clause 0x1
	s_load_b64 s[4:5], s[0:1], 0x18
	s_load_b64 s[2:3], s[0:1], 0x8
	v_and_b32_e32 v15, 63, v0
	s_wait_kmcnt 0x0
	v_lshl_add_u64 v[0:1], v[2:3], 3, s[4:5]
	s_mov_b32 s4, exec_lo
	s_delay_alu instid0(VALU_DEP_2)
	v_cmpx_eq_u32_e32 0, v15
	s_cbranch_execz .LBB12_3
; %bb.2:
	v_mov_b64_e32 v[4:5], -1
	global_store_b64 v[0:1], v[4:5], off
.LBB12_3:
	s_wait_xcnt 0x0
	s_or_b32 exec_lo, exec_lo, s4
	v_lshl_add_u64 v[4:5], v[2:3], 3, s[2:3]
	s_load_b256 s[4:11], s[0:1], 0x20
	v_not_b32_e32 v10, v15
	s_mov_b32 s3, 0
	v_mov_b32_e32 v17, 0
	global_load_b128 v[6:9], v[4:5], off
	v_ashrrev_i32_e32 v11, 31, v10
	s_wait_kmcnt 0x0
	s_mov_b32 s2, s10
	s_mov_b32 s10, exec_lo
	s_wait_loadcnt 0x0
	v_sub_nc_u64_e64 v[4:5], v[8:9], s[2:3]
	v_sub_nc_u64_e64 v[6:7], v[6:7], s[2:3]
	s_delay_alu instid0(VALU_DEP_2) | instskip(NEXT) | instid1(VALU_DEP_1)
	v_add_nc_u64_e32 v[12:13], v[4:5], v[10:11]
	v_cmpx_ge_i64_e64 v[12:13], v[6:7]
	s_cbranch_execz .LBB12_27
; %bb.4:
	s_load_b64 s[0:1], s[0:1], 0x10
	v_mov_b32_e32 v17, 0
	s_mov_b64 s[18:19], 0xffffffffffffffc0
	s_mov_b32 s15, s3
                                        ; implicit-def: $sgpr13
                                        ; implicit-def: $sgpr21
                                        ; implicit-def: $sgpr20
	s_branch .LBB12_8
.LBB12_5:                               ;   in Loop: Header=BB12_8 Depth=1
	s_or_b32 exec_lo, exec_lo, s24
.LBB12_6:                               ;   in Loop: Header=BB12_8 Depth=1
	s_delay_alu instid0(SALU_CYCLE_1) | instskip(SKIP_4) | instid1(VALU_DEP_2)
	s_or_b32 exec_lo, exec_lo, s23
	v_add_nc_u64_e32 v[12:13], s[18:19], v[10:11]
	v_max_i32_e32 v17, v17, v16
	s_and_not1_b32 s21, s21, exec_lo
	s_and_not1_b32 s20, s20, exec_lo
	v_cmp_lt_i64_e32 vcc_lo, v[12:13], v[6:7]
	s_and_b32 s23, vcc_lo, exec_lo
	s_delay_alu instid0(SALU_CYCLE_1)
	s_or_b32 s21, s21, s23
.LBB12_7:                               ;   in Loop: Header=BB12_8 Depth=1
	s_or_b32 exec_lo, exec_lo, s22
	s_delay_alu instid0(SALU_CYCLE_1) | instskip(NEXT) | instid1(SALU_CYCLE_1)
	s_and_b32 s22, exec_lo, s21
	s_or_b32 s15, s22, s15
	s_and_not1_b32 s13, s13, exec_lo
	s_and_b32 s22, s20, exec_lo
	s_delay_alu instid0(SALU_CYCLE_1)
	s_or_b32 s13, s13, s22
	s_and_not1_b32 exec_lo, exec_lo, s15
	s_cbranch_execz .LBB12_14
.LBB12_8:                               ; =>This Loop Header: Depth=1
                                        ;     Child Loop BB12_12 Depth 2
                                        ;       Child Loop BB12_13 Depth 3
	v_mov_b64_e32 v[10:11], v[12:13]
	v_mov_b32_e32 v16, v17
	s_or_b32 s20, s20, exec_lo
	s_or_b32 s21, s21, exec_lo
	s_mov_b32 s22, exec_lo
                                        ; implicit-def: $vgpr12_vgpr13
                                        ; implicit-def: $vgpr17
	s_wait_kmcnt 0x0
	s_delay_alu instid0(VALU_DEP_2) | instskip(SKIP_3) | instid1(VALU_DEP_1)
	v_lshl_add_u64 v[8:9], v[10:11], 3, s[0:1]
	global_load_b64 v[8:9], v[8:9], off th:TH_LOAD_NT
	s_wait_loadcnt 0x0
	v_sub_nc_u64_e64 v[8:9], v[8:9], s[2:3]
	v_cmpx_lt_i64_e64 s[16:17], v[8:9]
	s_cbranch_execz .LBB12_7
; %bb.9:                                ;   in Loop: Header=BB12_8 Depth=1
	v_lshl_add_u64 v[12:13], v[8:9], 2, s[4:5]
	s_mov_b32 s23, exec_lo
	global_load_b32 v17, v[12:13], off scope:SCOPE_DEV
	s_wait_loadcnt 0x0
	v_cmpx_eq_u32_e32 0, v17
	s_cbranch_execz .LBB12_6
; %bb.10:                               ;   in Loop: Header=BB12_8 Depth=1
	s_mov_b32 s24, 0
	s_mov_b32 s25, 0
	s_branch .LBB12_12
.LBB12_11:                              ;   in Loop: Header=BB12_12 Depth=2
	global_load_b32 v17, v[12:13], off scope:SCOPE_DEV
	s_cmp_lt_u32 s25, 0xf43
	s_cselect_b32 s26, -1, 0
	s_delay_alu instid0(SALU_CYCLE_1)
	s_cmp_lg_u32 s26, 0
	s_add_co_ci_u32 s25, s25, 0
	s_wait_loadcnt 0x0
	v_cmp_ne_u32_e32 vcc_lo, 0, v17
	s_or_b32 s24, vcc_lo, s24
	s_wait_xcnt 0x0
	s_and_not1_b32 exec_lo, exec_lo, s24
	s_cbranch_execz .LBB12_5
.LBB12_12:                              ;   Parent Loop BB12_8 Depth=1
                                        ; =>  This Loop Header: Depth=2
                                        ;       Child Loop BB12_13 Depth 3
	s_cmp_eq_u32 s25, 0
	s_mov_b32 s26, s25
	s_cbranch_scc1 .LBB12_11
.LBB12_13:                              ;   Parent Loop BB12_8 Depth=1
                                        ;     Parent Loop BB12_12 Depth=2
                                        ; =>    This Inner Loop Header: Depth=3
	s_add_co_i32 s26, s26, -1
	s_sleep 1
	s_cmp_eq_u32 s26, 0
	s_cbranch_scc0 .LBB12_13
	s_branch .LBB12_11
.LBB12_14:
	s_or_b32 exec_lo, exec_lo, s15
	s_and_saveexec_b32 s0, s13
	s_delay_alu instid0(SALU_CYCLE_1)
	s_xor_b32 s0, exec_lo, s0
	s_cbranch_execz .LBB12_26
; %bb.15:
	s_mov_b32 s1, exec_lo
	v_cmpx_eq_u64_e64 v[8:9], v[2:3]
	s_cbranch_execz .LBB12_17
; %bb.16:
	global_store_b64 v[0:1], v[10:11], off
.LBB12_17:
	s_wait_xcnt 0x0
	s_or_b32 exec_lo, exec_lo, s1
	s_delay_alu instid0(SALU_CYCLE_1)
	s_mov_b32 s1, exec_lo
	v_cmpx_gt_i64_e64 v[8:9], v[2:3]
	s_cbranch_execz .LBB12_25
; %bb.18:
	s_xor_b32 s13, s14, 0x3ffffff0
	s_delay_alu instid0(SALU_CYCLE_1) | instskip(SKIP_3) | instid1(VALU_DEP_1)
	s_add_co_i32 s12, s12, s13
	s_mov_b32 s13, 0
	v_sub_nc_u32_e32 v8, s12, v8
	s_mov_b32 s12, exec_lo
	v_lshlrev_b32_e32 v8, 2, v8
	ds_load_b32 v9, v8 offset:60
	s_wait_dscnt 0x0
	v_cmpx_eq_u32_e32 0, v9
	s_cbranch_execz .LBB12_24
; %bb.19:
	s_mov_b32 s14, 0
	s_branch .LBB12_21
.LBB12_20:                              ;   in Loop: Header=BB12_21 Depth=1
	ds_load_b32 v9, v8 offset:60
	s_cmp_lt_u32 s14, 0xf43
	s_cselect_b32 s15, -1, 0
	s_delay_alu instid0(SALU_CYCLE_1) | instskip(SKIP_4) | instid1(SALU_CYCLE_1)
	s_cmp_lg_u32 s15, 0
	s_add_co_ci_u32 s14, s14, 0
	s_wait_dscnt 0x0
	v_cmp_ne_u32_e32 vcc_lo, 0, v9
	s_or_b32 s13, vcc_lo, s13
	s_and_not1_b32 exec_lo, exec_lo, s13
	s_cbranch_execz .LBB12_23
.LBB12_21:                              ; =>This Loop Header: Depth=1
                                        ;     Child Loop BB12_22 Depth 2
	s_cmp_eq_u32 s14, 0
	s_mov_b32 s15, s14
	s_cbranch_scc1 .LBB12_20
.LBB12_22:                              ;   Parent Loop BB12_21 Depth=1
                                        ; =>  This Inner Loop Header: Depth=2
	s_add_co_i32 s15, s15, -1
	s_sleep 1
	s_cmp_eq_u32 s15, 0
	s_cbranch_scc0 .LBB12_22
	s_branch .LBB12_20
.LBB12_23:
	s_or_b32 exec_lo, exec_lo, s13
.LBB12_24:
	s_delay_alu instid0(SALU_CYCLE_1)
	s_or_b32 exec_lo, exec_lo, s12
	v_max_i32_e32 v16, v9, v16
.LBB12_25:
	s_or_b32 exec_lo, exec_lo, s1
	s_delay_alu instid0(VALU_DEP_1)
	v_mov_b32_e32 v17, v16
.LBB12_26:
	s_or_b32 exec_lo, exec_lo, s0
.LBB12_27:
	s_delay_alu instid0(SALU_CYCLE_1) | instskip(SKIP_2) | instid1(VALU_DEP_1)
	s_or_b32 exec_lo, exec_lo, s10
	v_mbcnt_lo_u32_b32 v8, -1, 0
	s_wait_storecnt 0x0
	v_xor_b32_e32 v10, 16, v8
	v_or_b32_e32 v9, 32, v8
	v_xor_b32_e32 v11, 8, v8
	s_delay_alu instid0(VALU_DEP_2) | instskip(SKIP_4) | instid1(VALU_DEP_2)
	v_cmp_gt_i32_e32 vcc_lo, 32, v9
	v_cndmask_b32_e32 v9, v8, v9, vcc_lo
	v_cmp_gt_i32_e32 vcc_lo, 32, v10
	v_cndmask_b32_e32 v10, v8, v10, vcc_lo
	v_cmp_gt_i32_e32 vcc_lo, 32, v11
	v_dual_lshlrev_b32 v10, 2, v10 :: v_dual_lshlrev_b32 v9, 2, v9
	v_cndmask_b32_e32 v11, v8, v11, vcc_lo
	ds_bpermute_b32 v9, v9, v17
	s_wait_dscnt 0x0
	v_dual_lshlrev_b32 v11, 2, v11 :: v_dual_max_i32 v9, v17, v9
	ds_bpermute_b32 v10, v10, v9
	s_wait_dscnt 0x0
	v_max_i32_e32 v9, v9, v10
	ds_bpermute_b32 v10, v11, v9
	v_xor_b32_e32 v11, 4, v8
	s_delay_alu instid0(VALU_DEP_1) | instskip(SKIP_2) | instid1(VALU_DEP_1)
	v_cmp_gt_i32_e32 vcc_lo, 32, v11
	v_cndmask_b32_e32 v11, v8, v11, vcc_lo
	s_wait_dscnt 0x0
	v_dual_lshlrev_b32 v11, 2, v11 :: v_dual_max_i32 v9, v9, v10
	ds_bpermute_b32 v10, v11, v9
	v_xor_b32_e32 v11, 2, v8
	s_delay_alu instid0(VALU_DEP_1) | instskip(SKIP_2) | instid1(VALU_DEP_1)
	v_cmp_gt_i32_e32 vcc_lo, 32, v11
	s_wait_dscnt 0x0
	v_dual_cndmask_b32 v11, v8, v11, vcc_lo :: v_dual_max_i32 v9, v9, v10
	v_lshlrev_b32_e32 v11, 2, v11
	ds_bpermute_b32 v10, v11, v9
	v_xor_b32_e32 v11, 1, v8
	s_delay_alu instid0(VALU_DEP_1) | instskip(SKIP_3) | instid1(VALU_DEP_2)
	v_cmp_gt_i32_e32 vcc_lo, 32, v11
	v_cndmask_b32_e32 v11, v8, v11, vcc_lo
	v_cmp_eq_u32_e32 vcc_lo, 63, v15
	s_wait_dscnt 0x0
	v_dual_lshlrev_b32 v9, 2, v11 :: v_dual_max_i32 v8, v9, v10
	ds_bpermute_b32 v9, v9, v8
	s_and_b32 exec_lo, exec_lo, vcc_lo
	s_cbranch_execz .LBB12_37
; %bb.28:
	s_wait_dscnt 0x0
	v_max_i32_e32 v8, v8, v9
	v_sub_nc_u64_e32 v[6:7], v[4:5], v[6:7]
	v_mov_b64_e32 v[4:5], 0
	s_mov_b32 s0, exec_lo
	s_delay_alu instid0(VALU_DEP_3)
	v_add_nc_u32_e32 v10, 1, v8
	v_lshl_add_u64 v[8:9], v[2:3], 2, s[4:5]
	ds_store_b32 v14, v10
	global_store_b32 v[8:9], v10, off scope:SCOPE_DEV
.LBB12_29:                              ; =>This Inner Loop Header: Depth=1
	s_ctz_i32_b32 s1, s0
	s_delay_alu instid0(SALU_CYCLE_1) | instskip(SKIP_2) | instid1(SALU_CYCLE_1)
	v_readlane_b32 s5, v7, s1
	v_readlane_b32 s4, v6, s1
	s_lshl_b32 s1, 1, s1
	s_and_not1_b32 s0, s0, s1
	v_max_u64 v[4:5], v[4:5], s[4:5]
	s_cmp_lg_u32 s0, 0
	s_cbranch_scc1 .LBB12_29
; %bb.30:
	v_mbcnt_lo_u32_b32 v6, exec_lo, 0
	s_mov_b32 s0, exec_lo
	s_wait_xcnt 0x0
	s_delay_alu instid0(VALU_DEP_1)
	v_cmpx_eq_u32_e32 0, v6
	s_xor_b32 s0, exec_lo, s0
	s_cbranch_execz .LBB12_32
; %bb.31:
	v_mov_b32_e32 v6, 0
	global_atomic_max_u64 v6, v[4:5], s[6:7] scope:SCOPE_DEV
.LBB12_32:
	s_wait_xcnt 0x0
	s_or_b32 exec_lo, exec_lo, s0
	global_load_b64 v[0:1], v[0:1], off
	s_cmp_eq_u32 s11, 0
	s_cselect_b32 s0, -1, 0
	s_wait_loadcnt 0x0
	v_cmp_eq_u64_e32 vcc_lo, -1, v[0:1]
	s_and_b32 s0, s0, vcc_lo
	s_wait_xcnt 0x0
	s_and_b32 exec_lo, exec_lo, s0
	s_cbranch_execz .LBB12_37
; %bb.33:
	v_add_nc_u64_e32 v[2:3], s[2:3], v[2:3]
	v_mov_b64_e32 v[0:1], -1
	s_mov_b32 s0, exec_lo
.LBB12_34:                              ; =>This Inner Loop Header: Depth=1
	s_delay_alu instid0(SALU_CYCLE_1)
	s_ctz_i32_b32 s1, s0
	s_delay_alu instid0(VALU_DEP_2) | instid1(SALU_CYCLE_1)
	v_readlane_b32 s3, v3, s1
	s_delay_alu instid0(VALU_DEP_3) | instskip(SKIP_1) | instid1(SALU_CYCLE_1)
	v_readlane_b32 s2, v2, s1
	s_lshl_b32 s1, 1, s1
	s_and_not1_b32 s0, s0, s1
	v_min_u64 v[0:1], v[0:1], s[2:3]
	s_cmp_lg_u32 s0, 0
	s_cbranch_scc1 .LBB12_34
; %bb.35:
	v_mbcnt_lo_u32_b32 v2, exec_lo, 0
	s_mov_b32 s0, exec_lo
	s_delay_alu instid0(VALU_DEP_1)
	v_cmpx_eq_u32_e32 0, v2
	s_xor_b32 s0, exec_lo, s0
	s_cbranch_execz .LBB12_37
; %bb.36:
	v_mov_b32_e32 v2, 0
	global_atomic_min_u64 v2, v[0:1], s[8:9] scope:SCOPE_DEV
.LBB12_37:
	s_endpgm
	.section	.rodata,"a",@progbits
	.p2align	6, 0x0
	.amdhsa_kernel _ZN9rocsparseL27csrsv_analysis_upper_kernelILj1024ELj64ELb1EllEEvT3_PKT2_PKS1_PS2_PiS7_PS1_21rocsparse_index_base_20rocsparse_diag_type_
		.amdhsa_group_segment_fixed_size 64
		.amdhsa_private_segment_fixed_size 0
		.amdhsa_kernarg_size 64
		.amdhsa_user_sgpr_count 2
		.amdhsa_user_sgpr_dispatch_ptr 0
		.amdhsa_user_sgpr_queue_ptr 0
		.amdhsa_user_sgpr_kernarg_segment_ptr 1
		.amdhsa_user_sgpr_dispatch_id 0
		.amdhsa_user_sgpr_kernarg_preload_length 0
		.amdhsa_user_sgpr_kernarg_preload_offset 0
		.amdhsa_user_sgpr_private_segment_size 0
		.amdhsa_wavefront_size32 1
		.amdhsa_uses_dynamic_stack 0
		.amdhsa_enable_private_segment 0
		.amdhsa_system_sgpr_workgroup_id_x 1
		.amdhsa_system_sgpr_workgroup_id_y 0
		.amdhsa_system_sgpr_workgroup_id_z 0
		.amdhsa_system_sgpr_workgroup_info 0
		.amdhsa_system_vgpr_workitem_id 0
		.amdhsa_next_free_vgpr 18
		.amdhsa_next_free_sgpr 27
		.amdhsa_named_barrier_count 0
		.amdhsa_reserve_vcc 1
		.amdhsa_float_round_mode_32 0
		.amdhsa_float_round_mode_16_64 0
		.amdhsa_float_denorm_mode_32 3
		.amdhsa_float_denorm_mode_16_64 3
		.amdhsa_fp16_overflow 0
		.amdhsa_memory_ordered 1
		.amdhsa_forward_progress 1
		.amdhsa_inst_pref_size 12
		.amdhsa_round_robin_scheduling 0
		.amdhsa_exception_fp_ieee_invalid_op 0
		.amdhsa_exception_fp_denorm_src 0
		.amdhsa_exception_fp_ieee_div_zero 0
		.amdhsa_exception_fp_ieee_overflow 0
		.amdhsa_exception_fp_ieee_underflow 0
		.amdhsa_exception_fp_ieee_inexact 0
		.amdhsa_exception_int_div_zero 0
	.end_amdhsa_kernel
	.section	.text._ZN9rocsparseL27csrsv_analysis_upper_kernelILj1024ELj64ELb1EllEEvT3_PKT2_PKS1_PS2_PiS7_PS1_21rocsparse_index_base_20rocsparse_diag_type_,"axG",@progbits,_ZN9rocsparseL27csrsv_analysis_upper_kernelILj1024ELj64ELb1EllEEvT3_PKT2_PKS1_PS2_PiS7_PS1_21rocsparse_index_base_20rocsparse_diag_type_,comdat
.Lfunc_end12:
	.size	_ZN9rocsparseL27csrsv_analysis_upper_kernelILj1024ELj64ELb1EllEEvT3_PKT2_PKS1_PS2_PiS7_PS1_21rocsparse_index_base_20rocsparse_diag_type_, .Lfunc_end12-_ZN9rocsparseL27csrsv_analysis_upper_kernelILj1024ELj64ELb1EllEEvT3_PKT2_PKS1_PS2_PiS7_PS1_21rocsparse_index_base_20rocsparse_diag_type_
                                        ; -- End function
	.set _ZN9rocsparseL27csrsv_analysis_upper_kernelILj1024ELj64ELb1EllEEvT3_PKT2_PKS1_PS2_PiS7_PS1_21rocsparse_index_base_20rocsparse_diag_type_.num_vgpr, 18
	.set _ZN9rocsparseL27csrsv_analysis_upper_kernelILj1024ELj64ELb1EllEEvT3_PKT2_PKS1_PS2_PiS7_PS1_21rocsparse_index_base_20rocsparse_diag_type_.num_agpr, 0
	.set _ZN9rocsparseL27csrsv_analysis_upper_kernelILj1024ELj64ELb1EllEEvT3_PKT2_PKS1_PS2_PiS7_PS1_21rocsparse_index_base_20rocsparse_diag_type_.numbered_sgpr, 27
	.set _ZN9rocsparseL27csrsv_analysis_upper_kernelILj1024ELj64ELb1EllEEvT3_PKT2_PKS1_PS2_PiS7_PS1_21rocsparse_index_base_20rocsparse_diag_type_.num_named_barrier, 0
	.set _ZN9rocsparseL27csrsv_analysis_upper_kernelILj1024ELj64ELb1EllEEvT3_PKT2_PKS1_PS2_PiS7_PS1_21rocsparse_index_base_20rocsparse_diag_type_.private_seg_size, 0
	.set _ZN9rocsparseL27csrsv_analysis_upper_kernelILj1024ELj64ELb1EllEEvT3_PKT2_PKS1_PS2_PiS7_PS1_21rocsparse_index_base_20rocsparse_diag_type_.uses_vcc, 1
	.set _ZN9rocsparseL27csrsv_analysis_upper_kernelILj1024ELj64ELb1EllEEvT3_PKT2_PKS1_PS2_PiS7_PS1_21rocsparse_index_base_20rocsparse_diag_type_.uses_flat_scratch, 0
	.set _ZN9rocsparseL27csrsv_analysis_upper_kernelILj1024ELj64ELb1EllEEvT3_PKT2_PKS1_PS2_PiS7_PS1_21rocsparse_index_base_20rocsparse_diag_type_.has_dyn_sized_stack, 0
	.set _ZN9rocsparseL27csrsv_analysis_upper_kernelILj1024ELj64ELb1EllEEvT3_PKT2_PKS1_PS2_PiS7_PS1_21rocsparse_index_base_20rocsparse_diag_type_.has_recursion, 0
	.set _ZN9rocsparseL27csrsv_analysis_upper_kernelILj1024ELj64ELb1EllEEvT3_PKT2_PKS1_PS2_PiS7_PS1_21rocsparse_index_base_20rocsparse_diag_type_.has_indirect_call, 0
	.section	.AMDGPU.csdata,"",@progbits
; Kernel info:
; codeLenInByte = 1440
; TotalNumSgprs: 29
; NumVgprs: 18
; ScratchSize: 0
; MemoryBound: 0
; FloatMode: 240
; IeeeMode: 1
; LDSByteSize: 64 bytes/workgroup (compile time only)
; SGPRBlocks: 0
; VGPRBlocks: 1
; NumSGPRsForWavesPerEU: 29
; NumVGPRsForWavesPerEU: 18
; NamedBarCnt: 0
; Occupancy: 16
; WaveLimiterHint : 1
; COMPUTE_PGM_RSRC2:SCRATCH_EN: 0
; COMPUTE_PGM_RSRC2:USER_SGPR: 2
; COMPUTE_PGM_RSRC2:TRAP_HANDLER: 0
; COMPUTE_PGM_RSRC2:TGID_X_EN: 1
; COMPUTE_PGM_RSRC2:TGID_Y_EN: 0
; COMPUTE_PGM_RSRC2:TGID_Z_EN: 0
; COMPUTE_PGM_RSRC2:TIDIG_COMP_CNT: 0
	.section	.text._ZN9rocsparseL27csrsv_analysis_lower_kernelILj1024ELj64ELb1EllEEvT3_PKT2_PKS1_PS2_PiS7_PS1_21rocsparse_index_base_20rocsparse_diag_type_,"axG",@progbits,_ZN9rocsparseL27csrsv_analysis_lower_kernelILj1024ELj64ELb1EllEEvT3_PKT2_PKS1_PS2_PiS7_PS1_21rocsparse_index_base_20rocsparse_diag_type_,comdat
	.globl	_ZN9rocsparseL27csrsv_analysis_lower_kernelILj1024ELj64ELb1EllEEvT3_PKT2_PKS1_PS2_PiS7_PS1_21rocsparse_index_base_20rocsparse_diag_type_ ; -- Begin function _ZN9rocsparseL27csrsv_analysis_lower_kernelILj1024ELj64ELb1EllEEvT3_PKT2_PKS1_PS2_PiS7_PS1_21rocsparse_index_base_20rocsparse_diag_type_
	.p2align	8
	.type	_ZN9rocsparseL27csrsv_analysis_lower_kernelILj1024ELj64ELb1EllEEvT3_PKT2_PKS1_PS2_PiS7_PS1_21rocsparse_index_base_20rocsparse_diag_type_,@function
_ZN9rocsparseL27csrsv_analysis_lower_kernelILj1024ELj64ELb1EllEEvT3_PKT2_PKS1_PS2_PiS7_PS1_21rocsparse_index_base_20rocsparse_diag_type_: ; @_ZN9rocsparseL27csrsv_analysis_lower_kernelILj1024ELj64ELb1EllEEvT3_PKT2_PKS1_PS2_PiS7_PS1_21rocsparse_index_base_20rocsparse_diag_type_
; %bb.0:
	s_load_b64 s[2:3], s[0:1], 0x0
	s_bfe_u32 s4, ttmp6, 0x4000c
	s_and_b32 s5, ttmp6, 15
	s_add_co_i32 s4, s4, 1
	s_getreg_b32 s6, hwreg(HW_REG_IB_STS2, 6, 4)
	s_mul_i32 s4, ttmp9, s4
	v_dual_lshrrev_b32 v1, 6, v0 :: v_dual_mov_b32 v3, 0
	s_add_co_i32 s5, s5, s4
	s_cmp_eq_u32 s6, 0
	s_cselect_b32 s4, ttmp9, s5
	s_delay_alu instid0(VALU_DEP_1) | instskip(SKIP_1) | instid1(SALU_CYCLE_1)
	v_lshlrev_b32_e32 v16, 2, v1
	s_lshl_b32 s12, s4, 4
	v_or_b32_e32 v2, s12, v1
	ds_store_b32 v16, v3
	s_wait_dscnt 0x0
	s_barrier_signal -1
	s_wait_kmcnt 0x0
	v_cmp_gt_i64_e32 vcc_lo, s[2:3], v[2:3]
	s_barrier_wait -1
	s_and_saveexec_b32 s2, vcc_lo
	s_cbranch_execz .LBB13_37
; %bb.1:
	s_clause 0x1
	s_load_b64 s[4:5], s[0:1], 0x18
	s_load_b64 s[2:3], s[0:1], 0x8
	v_and_b32_e32 v4, 63, v0
	s_wait_kmcnt 0x0
	v_lshl_add_u64 v[0:1], v[2:3], 3, s[4:5]
	s_mov_b32 s4, exec_lo
	s_delay_alu instid0(VALU_DEP_2)
	v_cmpx_eq_u32_e32 0, v4
	s_cbranch_execz .LBB13_3
; %bb.2:
	v_mov_b64_e32 v[6:7], -1
	global_store_b64 v[0:1], v[6:7], off
.LBB13_3:
	s_wait_xcnt 0x0
	s_or_b32 exec_lo, exec_lo, s4
	v_lshl_add_u64 v[6:7], v[2:3], 3, s[2:3]
	s_load_b256 s[4:11], s[0:1], 0x20
	s_mov_b32 s3, 0
	v_mov_b32_e32 v5, 0
	global_load_b128 v[6:9], v[6:7], off
	s_wait_kmcnt 0x0
	s_mov_b32 s2, s10
	s_mov_b32 s10, exec_lo
	s_wait_loadcnt 0x0
	v_sub_nc_u64_e64 v[6:7], v[6:7], s[2:3]
	v_sub_nc_u64_e64 v[8:9], v[8:9], s[2:3]
	s_delay_alu instid0(VALU_DEP_2) | instskip(NEXT) | instid1(VALU_DEP_1)
	v_add_nc_u64_e32 v[14:15], v[6:7], v[4:5]
	v_cmpx_lt_i64_e64 v[14:15], v[8:9]
	s_cbranch_execz .LBB13_27
; %bb.4:
	s_load_b64 s[0:1], s[0:1], 0x10
	v_mov_b32_e32 v5, 0
	s_mov_b32 s13, s3
	s_mov_b32 s15, s3
                                        ; implicit-def: $sgpr14
                                        ; implicit-def: $sgpr17
                                        ; implicit-def: $sgpr16
	s_branch .LBB13_8
.LBB13_5:                               ;   in Loop: Header=BB13_8 Depth=1
	s_or_b32 exec_lo, exec_lo, s20
.LBB13_6:                               ;   in Loop: Header=BB13_8 Depth=1
	s_delay_alu instid0(SALU_CYCLE_1) | instskip(SKIP_4) | instid1(VALU_DEP_2)
	s_or_b32 exec_lo, exec_lo, s19
	v_add_nc_u64_e32 v[14:15], 64, v[12:13]
	v_max_i32_e32 v5, v5, v17
	s_and_not1_b32 s17, s17, exec_lo
	s_and_not1_b32 s16, s16, exec_lo
	v_cmp_ge_i64_e32 vcc_lo, v[14:15], v[8:9]
	s_and_b32 s19, vcc_lo, exec_lo
	s_delay_alu instid0(SALU_CYCLE_1)
	s_or_b32 s17, s17, s19
.LBB13_7:                               ;   in Loop: Header=BB13_8 Depth=1
	s_or_b32 exec_lo, exec_lo, s18
	s_delay_alu instid0(SALU_CYCLE_1) | instskip(NEXT) | instid1(SALU_CYCLE_1)
	s_and_b32 s18, exec_lo, s17
	s_or_b32 s15, s18, s15
	s_and_not1_b32 s14, s14, exec_lo
	s_and_b32 s18, s16, exec_lo
	s_delay_alu instid0(SALU_CYCLE_1)
	s_or_b32 s14, s14, s18
	s_and_not1_b32 exec_lo, exec_lo, s15
	s_cbranch_execz .LBB13_14
.LBB13_8:                               ; =>This Loop Header: Depth=1
                                        ;     Child Loop BB13_12 Depth 2
                                        ;       Child Loop BB13_13 Depth 3
	v_mov_b64_e32 v[12:13], v[14:15]
	v_mov_b32_e32 v17, v5
	s_or_b32 s16, s16, exec_lo
	s_or_b32 s17, s17, exec_lo
	s_mov_b32 s18, exec_lo
                                        ; implicit-def: $vgpr14_vgpr15
	s_wait_kmcnt 0x0
	s_delay_alu instid0(VALU_DEP_2) | instskip(SKIP_3) | instid1(VALU_DEP_1)
	v_lshl_add_u64 v[10:11], v[12:13], 3, s[0:1]
	global_load_b64 v[10:11], v[10:11], off th:TH_LOAD_NT
	s_wait_loadcnt 0x0
	v_sub_nc_u64_e64 v[10:11], v[10:11], s[2:3]
	v_cmpx_gt_i64_e64 s[12:13], v[10:11]
	s_cbranch_execz .LBB13_7
; %bb.9:                                ;   in Loop: Header=BB13_8 Depth=1
	v_lshl_add_u64 v[14:15], v[10:11], 2, s[4:5]
	s_mov_b32 s19, exec_lo
	global_load_b32 v5, v[14:15], off scope:SCOPE_DEV
	s_wait_loadcnt 0x0
	v_cmpx_eq_u32_e32 0, v5
	s_cbranch_execz .LBB13_6
; %bb.10:                               ;   in Loop: Header=BB13_8 Depth=1
	s_mov_b32 s20, 0
	s_mov_b32 s21, 0
	s_branch .LBB13_12
.LBB13_11:                              ;   in Loop: Header=BB13_12 Depth=2
	global_load_b32 v5, v[14:15], off scope:SCOPE_DEV
	s_cmp_lt_u32 s21, 0xf43
	s_cselect_b32 s22, -1, 0
	s_delay_alu instid0(SALU_CYCLE_1)
	s_cmp_lg_u32 s22, 0
	s_add_co_ci_u32 s21, s21, 0
	s_wait_loadcnt 0x0
	v_cmp_ne_u32_e32 vcc_lo, 0, v5
	s_or_b32 s20, vcc_lo, s20
	s_wait_xcnt 0x0
	s_and_not1_b32 exec_lo, exec_lo, s20
	s_cbranch_execz .LBB13_5
.LBB13_12:                              ;   Parent Loop BB13_8 Depth=1
                                        ; =>  This Loop Header: Depth=2
                                        ;       Child Loop BB13_13 Depth 3
	s_cmp_eq_u32 s21, 0
	s_mov_b32 s22, s21
	s_cbranch_scc1 .LBB13_11
.LBB13_13:                              ;   Parent Loop BB13_8 Depth=1
                                        ;     Parent Loop BB13_12 Depth=2
                                        ; =>    This Inner Loop Header: Depth=3
	s_add_co_i32 s22, s22, -1
	s_sleep 1
	s_cmp_eq_u32 s22, 0
	s_cbranch_scc0 .LBB13_13
	s_branch .LBB13_11
.LBB13_14:
	s_or_b32 exec_lo, exec_lo, s15
	s_and_saveexec_b32 s0, s14
	s_delay_alu instid0(SALU_CYCLE_1)
	s_xor_b32 s0, exec_lo, s0
	s_cbranch_execz .LBB13_26
; %bb.15:
	s_mov_b32 s1, exec_lo
	v_cmpx_eq_u64_e64 v[10:11], v[2:3]
	s_cbranch_execz .LBB13_17
; %bb.16:
	global_store_b64 v[0:1], v[12:13], off
.LBB13_17:
	s_wait_xcnt 0x0
	s_or_b32 exec_lo, exec_lo, s1
	s_delay_alu instid0(SALU_CYCLE_1)
	s_mov_b32 s1, exec_lo
	v_cmpx_lt_i64_e64 v[10:11], v[2:3]
	s_cbranch_execz .LBB13_25
; %bb.18:
	v_subrev_nc_u32_e32 v5, s12, v10
	s_mov_b32 s13, 0
	s_mov_b32 s12, exec_lo
	s_delay_alu instid0(VALU_DEP_1)
	v_lshlrev_b32_e32 v5, 2, v5
	ds_load_b32 v10, v5
	s_wait_dscnt 0x0
	v_cmpx_eq_u32_e32 0, v10
	s_cbranch_execz .LBB13_24
; %bb.19:
	s_mov_b32 s14, 0
	s_branch .LBB13_21
.LBB13_20:                              ;   in Loop: Header=BB13_21 Depth=1
	ds_load_b32 v10, v5
	s_cmp_lt_u32 s14, 0xf43
	s_cselect_b32 s15, -1, 0
	s_delay_alu instid0(SALU_CYCLE_1) | instskip(SKIP_4) | instid1(SALU_CYCLE_1)
	s_cmp_lg_u32 s15, 0
	s_add_co_ci_u32 s14, s14, 0
	s_wait_dscnt 0x0
	v_cmp_ne_u32_e32 vcc_lo, 0, v10
	s_or_b32 s13, vcc_lo, s13
	s_and_not1_b32 exec_lo, exec_lo, s13
	s_cbranch_execz .LBB13_23
.LBB13_21:                              ; =>This Loop Header: Depth=1
                                        ;     Child Loop BB13_22 Depth 2
	s_cmp_eq_u32 s14, 0
	s_mov_b32 s15, s14
	s_cbranch_scc1 .LBB13_20
.LBB13_22:                              ;   Parent Loop BB13_21 Depth=1
                                        ; =>  This Inner Loop Header: Depth=2
	s_add_co_i32 s15, s15, -1
	s_sleep 1
	s_cmp_eq_u32 s15, 0
	s_cbranch_scc0 .LBB13_22
	s_branch .LBB13_20
.LBB13_23:
	s_or_b32 exec_lo, exec_lo, s13
.LBB13_24:
	s_delay_alu instid0(SALU_CYCLE_1)
	s_or_b32 exec_lo, exec_lo, s12
	v_max_i32_e32 v17, v10, v17
.LBB13_25:
	s_or_b32 exec_lo, exec_lo, s1
	s_delay_alu instid0(VALU_DEP_1)
	v_mov_b32_e32 v5, v17
.LBB13_26:
	s_or_b32 exec_lo, exec_lo, s0
.LBB13_27:
	s_delay_alu instid0(SALU_CYCLE_1) | instskip(SKIP_2) | instid1(VALU_DEP_1)
	s_or_b32 exec_lo, exec_lo, s10
	v_mbcnt_lo_u32_b32 v10, -1, 0
	s_wait_storecnt 0x0
	v_xor_b32_e32 v12, 16, v10
	v_or_b32_e32 v11, 32, v10
	s_delay_alu instid0(VALU_DEP_1) | instskip(SKIP_1) | instid1(VALU_DEP_4)
	v_cmp_gt_i32_e32 vcc_lo, 32, v11
	v_cndmask_b32_e32 v11, v10, v11, vcc_lo
	v_cmp_gt_i32_e32 vcc_lo, 32, v12
	v_cndmask_b32_e32 v12, v10, v12, vcc_lo
	s_delay_alu instid0(VALU_DEP_1)
	v_dual_lshlrev_b32 v12, 2, v12 :: v_dual_lshlrev_b32 v11, 2, v11
	ds_bpermute_b32 v11, v11, v5
	s_wait_dscnt 0x0
	v_max_i32_e32 v5, v5, v11
	ds_bpermute_b32 v11, v12, v5
	v_xor_b32_e32 v12, 8, v10
	s_delay_alu instid0(VALU_DEP_1) | instskip(SKIP_2) | instid1(VALU_DEP_1)
	v_cmp_gt_i32_e32 vcc_lo, 32, v12
	v_cndmask_b32_e32 v12, v10, v12, vcc_lo
	s_wait_dscnt 0x0
	v_dual_lshlrev_b32 v12, 2, v12 :: v_dual_max_i32 v5, v5, v11
	ds_bpermute_b32 v11, v12, v5
	v_xor_b32_e32 v12, 4, v10
	s_delay_alu instid0(VALU_DEP_1) | instskip(SKIP_2) | instid1(VALU_DEP_1)
	v_cmp_gt_i32_e32 vcc_lo, 32, v12
	s_wait_dscnt 0x0
	v_dual_cndmask_b32 v12, v10, v12 :: v_dual_max_i32 v5, v5, v11
	v_lshlrev_b32_e32 v12, 2, v12
	ds_bpermute_b32 v11, v12, v5
	v_xor_b32_e32 v12, 2, v10
	s_delay_alu instid0(VALU_DEP_1) | instskip(SKIP_2) | instid1(VALU_DEP_1)
	v_cmp_gt_i32_e32 vcc_lo, 32, v12
	s_wait_dscnt 0x0
	v_dual_cndmask_b32 v12, v10, v12 :: v_dual_max_i32 v5, v5, v11
	v_lshlrev_b32_e32 v12, 2, v12
	ds_bpermute_b32 v11, v12, v5
	v_xor_b32_e32 v12, 1, v10
	s_delay_alu instid0(VALU_DEP_1) | instskip(SKIP_3) | instid1(VALU_DEP_2)
	v_cmp_gt_i32_e32 vcc_lo, 32, v12
	v_cndmask_b32_e32 v10, v10, v12, vcc_lo
	v_cmp_eq_u32_e32 vcc_lo, 63, v4
	s_wait_dscnt 0x0
	v_dual_lshlrev_b32 v10, 2, v10 :: v_dual_max_i32 v5, v5, v11
	ds_bpermute_b32 v10, v10, v5
	s_and_b32 exec_lo, exec_lo, vcc_lo
	s_cbranch_execz .LBB13_37
; %bb.28:
	s_wait_dscnt 0x0
	v_max_i32_e32 v10, v5, v10
	v_sub_nc_u64_e32 v[6:7], v[8:9], v[6:7]
	v_mov_b64_e32 v[4:5], 0
	v_lshl_add_u64 v[8:9], v[2:3], 2, s[4:5]
	s_mov_b32 s0, exec_lo
	v_add_nc_u32_e32 v10, 1, v10
	ds_store_b32 v16, v10
	global_store_b32 v[8:9], v10, off scope:SCOPE_DEV
.LBB13_29:                              ; =>This Inner Loop Header: Depth=1
	s_ctz_i32_b32 s1, s0
	s_delay_alu instid0(SALU_CYCLE_1) | instskip(SKIP_2) | instid1(SALU_CYCLE_1)
	v_readlane_b32 s5, v7, s1
	v_readlane_b32 s4, v6, s1
	s_lshl_b32 s1, 1, s1
	s_and_not1_b32 s0, s0, s1
	v_max_u64 v[4:5], v[4:5], s[4:5]
	s_cmp_lg_u32 s0, 0
	s_cbranch_scc1 .LBB13_29
; %bb.30:
	v_mbcnt_lo_u32_b32 v6, exec_lo, 0
	s_mov_b32 s0, exec_lo
	s_wait_xcnt 0x0
	s_delay_alu instid0(VALU_DEP_1)
	v_cmpx_eq_u32_e32 0, v6
	s_xor_b32 s0, exec_lo, s0
	s_cbranch_execz .LBB13_32
; %bb.31:
	v_mov_b32_e32 v6, 0
	global_atomic_max_u64 v6, v[4:5], s[6:7] scope:SCOPE_DEV
.LBB13_32:
	s_wait_xcnt 0x0
	s_or_b32 exec_lo, exec_lo, s0
	global_load_b64 v[0:1], v[0:1], off
	s_cmp_eq_u32 s11, 0
	s_cselect_b32 s0, -1, 0
	s_wait_loadcnt 0x0
	v_cmp_eq_u64_e32 vcc_lo, -1, v[0:1]
	s_and_b32 s0, s0, vcc_lo
	s_wait_xcnt 0x0
	s_and_b32 exec_lo, exec_lo, s0
	s_cbranch_execz .LBB13_37
; %bb.33:
	v_add_nc_u64_e32 v[2:3], s[2:3], v[2:3]
	v_mov_b64_e32 v[0:1], -1
	s_mov_b32 s0, exec_lo
.LBB13_34:                              ; =>This Inner Loop Header: Depth=1
	s_delay_alu instid0(SALU_CYCLE_1)
	s_ctz_i32_b32 s1, s0
	s_delay_alu instid0(VALU_DEP_2) | instid1(SALU_CYCLE_1)
	v_readlane_b32 s3, v3, s1
	s_delay_alu instid0(VALU_DEP_3) | instskip(SKIP_1) | instid1(SALU_CYCLE_1)
	v_readlane_b32 s2, v2, s1
	s_lshl_b32 s1, 1, s1
	s_and_not1_b32 s0, s0, s1
	v_min_u64 v[0:1], v[0:1], s[2:3]
	s_cmp_lg_u32 s0, 0
	s_cbranch_scc1 .LBB13_34
; %bb.35:
	v_mbcnt_lo_u32_b32 v2, exec_lo, 0
	s_mov_b32 s0, exec_lo
	s_delay_alu instid0(VALU_DEP_1)
	v_cmpx_eq_u32_e32 0, v2
	s_xor_b32 s0, exec_lo, s0
	s_cbranch_execz .LBB13_37
; %bb.36:
	v_mov_b32_e32 v2, 0
	global_atomic_min_u64 v2, v[0:1], s[8:9] scope:SCOPE_DEV
.LBB13_37:
	s_endpgm
	.section	.rodata,"a",@progbits
	.p2align	6, 0x0
	.amdhsa_kernel _ZN9rocsparseL27csrsv_analysis_lower_kernelILj1024ELj64ELb1EllEEvT3_PKT2_PKS1_PS2_PiS7_PS1_21rocsparse_index_base_20rocsparse_diag_type_
		.amdhsa_group_segment_fixed_size 64
		.amdhsa_private_segment_fixed_size 0
		.amdhsa_kernarg_size 64
		.amdhsa_user_sgpr_count 2
		.amdhsa_user_sgpr_dispatch_ptr 0
		.amdhsa_user_sgpr_queue_ptr 0
		.amdhsa_user_sgpr_kernarg_segment_ptr 1
		.amdhsa_user_sgpr_dispatch_id 0
		.amdhsa_user_sgpr_kernarg_preload_length 0
		.amdhsa_user_sgpr_kernarg_preload_offset 0
		.amdhsa_user_sgpr_private_segment_size 0
		.amdhsa_wavefront_size32 1
		.amdhsa_uses_dynamic_stack 0
		.amdhsa_enable_private_segment 0
		.amdhsa_system_sgpr_workgroup_id_x 1
		.amdhsa_system_sgpr_workgroup_id_y 0
		.amdhsa_system_sgpr_workgroup_id_z 0
		.amdhsa_system_sgpr_workgroup_info 0
		.amdhsa_system_vgpr_workitem_id 0
		.amdhsa_next_free_vgpr 18
		.amdhsa_next_free_sgpr 23
		.amdhsa_named_barrier_count 0
		.amdhsa_reserve_vcc 1
		.amdhsa_float_round_mode_32 0
		.amdhsa_float_round_mode_16_64 0
		.amdhsa_float_denorm_mode_32 3
		.amdhsa_float_denorm_mode_16_64 3
		.amdhsa_fp16_overflow 0
		.amdhsa_memory_ordered 1
		.amdhsa_forward_progress 1
		.amdhsa_inst_pref_size 11
		.amdhsa_round_robin_scheduling 0
		.amdhsa_exception_fp_ieee_invalid_op 0
		.amdhsa_exception_fp_denorm_src 0
		.amdhsa_exception_fp_ieee_div_zero 0
		.amdhsa_exception_fp_ieee_overflow 0
		.amdhsa_exception_fp_ieee_underflow 0
		.amdhsa_exception_fp_ieee_inexact 0
		.amdhsa_exception_int_div_zero 0
	.end_amdhsa_kernel
	.section	.text._ZN9rocsparseL27csrsv_analysis_lower_kernelILj1024ELj64ELb1EllEEvT3_PKT2_PKS1_PS2_PiS7_PS1_21rocsparse_index_base_20rocsparse_diag_type_,"axG",@progbits,_ZN9rocsparseL27csrsv_analysis_lower_kernelILj1024ELj64ELb1EllEEvT3_PKT2_PKS1_PS2_PiS7_PS1_21rocsparse_index_base_20rocsparse_diag_type_,comdat
.Lfunc_end13:
	.size	_ZN9rocsparseL27csrsv_analysis_lower_kernelILj1024ELj64ELb1EllEEvT3_PKT2_PKS1_PS2_PiS7_PS1_21rocsparse_index_base_20rocsparse_diag_type_, .Lfunc_end13-_ZN9rocsparseL27csrsv_analysis_lower_kernelILj1024ELj64ELb1EllEEvT3_PKT2_PKS1_PS2_PiS7_PS1_21rocsparse_index_base_20rocsparse_diag_type_
                                        ; -- End function
	.set _ZN9rocsparseL27csrsv_analysis_lower_kernelILj1024ELj64ELb1EllEEvT3_PKT2_PKS1_PS2_PiS7_PS1_21rocsparse_index_base_20rocsparse_diag_type_.num_vgpr, 18
	.set _ZN9rocsparseL27csrsv_analysis_lower_kernelILj1024ELj64ELb1EllEEvT3_PKT2_PKS1_PS2_PiS7_PS1_21rocsparse_index_base_20rocsparse_diag_type_.num_agpr, 0
	.set _ZN9rocsparseL27csrsv_analysis_lower_kernelILj1024ELj64ELb1EllEEvT3_PKT2_PKS1_PS2_PiS7_PS1_21rocsparse_index_base_20rocsparse_diag_type_.numbered_sgpr, 23
	.set _ZN9rocsparseL27csrsv_analysis_lower_kernelILj1024ELj64ELb1EllEEvT3_PKT2_PKS1_PS2_PiS7_PS1_21rocsparse_index_base_20rocsparse_diag_type_.num_named_barrier, 0
	.set _ZN9rocsparseL27csrsv_analysis_lower_kernelILj1024ELj64ELb1EllEEvT3_PKT2_PKS1_PS2_PiS7_PS1_21rocsparse_index_base_20rocsparse_diag_type_.private_seg_size, 0
	.set _ZN9rocsparseL27csrsv_analysis_lower_kernelILj1024ELj64ELb1EllEEvT3_PKT2_PKS1_PS2_PiS7_PS1_21rocsparse_index_base_20rocsparse_diag_type_.uses_vcc, 1
	.set _ZN9rocsparseL27csrsv_analysis_lower_kernelILj1024ELj64ELb1EllEEvT3_PKT2_PKS1_PS2_PiS7_PS1_21rocsparse_index_base_20rocsparse_diag_type_.uses_flat_scratch, 0
	.set _ZN9rocsparseL27csrsv_analysis_lower_kernelILj1024ELj64ELb1EllEEvT3_PKT2_PKS1_PS2_PiS7_PS1_21rocsparse_index_base_20rocsparse_diag_type_.has_dyn_sized_stack, 0
	.set _ZN9rocsparseL27csrsv_analysis_lower_kernelILj1024ELj64ELb1EllEEvT3_PKT2_PKS1_PS2_PiS7_PS1_21rocsparse_index_base_20rocsparse_diag_type_.has_recursion, 0
	.set _ZN9rocsparseL27csrsv_analysis_lower_kernelILj1024ELj64ELb1EllEEvT3_PKT2_PKS1_PS2_PiS7_PS1_21rocsparse_index_base_20rocsparse_diag_type_.has_indirect_call, 0
	.section	.AMDGPU.csdata,"",@progbits
; Kernel info:
; codeLenInByte = 1400
; TotalNumSgprs: 25
; NumVgprs: 18
; ScratchSize: 0
; MemoryBound: 0
; FloatMode: 240
; IeeeMode: 1
; LDSByteSize: 64 bytes/workgroup (compile time only)
; SGPRBlocks: 0
; VGPRBlocks: 1
; NumSGPRsForWavesPerEU: 25
; NumVGPRsForWavesPerEU: 18
; NamedBarCnt: 0
; Occupancy: 16
; WaveLimiterHint : 1
; COMPUTE_PGM_RSRC2:SCRATCH_EN: 0
; COMPUTE_PGM_RSRC2:USER_SGPR: 2
; COMPUTE_PGM_RSRC2:TRAP_HANDLER: 0
; COMPUTE_PGM_RSRC2:TGID_X_EN: 1
; COMPUTE_PGM_RSRC2:TGID_Y_EN: 0
; COMPUTE_PGM_RSRC2:TGID_Z_EN: 0
; COMPUTE_PGM_RSRC2:TIDIG_COMP_CNT: 0
	.section	.text._ZN9rocsparseL27csrsv_analysis_upper_kernelILj1024ELj32ELb0EllEEvT3_PKT2_PKS1_PS2_PiS7_PS1_21rocsparse_index_base_20rocsparse_diag_type_,"axG",@progbits,_ZN9rocsparseL27csrsv_analysis_upper_kernelILj1024ELj32ELb0EllEEvT3_PKT2_PKS1_PS2_PiS7_PS1_21rocsparse_index_base_20rocsparse_diag_type_,comdat
	.globl	_ZN9rocsparseL27csrsv_analysis_upper_kernelILj1024ELj32ELb0EllEEvT3_PKT2_PKS1_PS2_PiS7_PS1_21rocsparse_index_base_20rocsparse_diag_type_ ; -- Begin function _ZN9rocsparseL27csrsv_analysis_upper_kernelILj1024ELj32ELb0EllEEvT3_PKT2_PKS1_PS2_PiS7_PS1_21rocsparse_index_base_20rocsparse_diag_type_
	.p2align	8
	.type	_ZN9rocsparseL27csrsv_analysis_upper_kernelILj1024ELj32ELb0EllEEvT3_PKT2_PKS1_PS2_PiS7_PS1_21rocsparse_index_base_20rocsparse_diag_type_,@function
_ZN9rocsparseL27csrsv_analysis_upper_kernelILj1024ELj32ELb0EllEEvT3_PKT2_PKS1_PS2_PiS7_PS1_21rocsparse_index_base_20rocsparse_diag_type_: ; @_ZN9rocsparseL27csrsv_analysis_upper_kernelILj1024ELj32ELb0EllEEvT3_PKT2_PKS1_PS2_PiS7_PS1_21rocsparse_index_base_20rocsparse_diag_type_
; %bb.0:
	s_load_b64 s[12:13], s[0:1], 0x0
	s_bfe_u32 s2, ttmp6, 0x4000c
	s_and_b32 s3, ttmp6, 15
	s_add_co_i32 s2, s2, 1
	s_getreg_b32 s4, hwreg(HW_REG_IB_STS2, 6, 4)
	s_mul_i32 s2, ttmp9, s2
	s_mov_b32 s15, 0
	s_add_co_i32 s3, s3, s2
	s_cmp_eq_u32 s4, 0
	v_dual_mov_b32 v5, 0 :: v_dual_lshrrev_b32 v4, 5, v0
	s_cselect_b32 s2, ttmp9, s3
	s_delay_alu instid0(SALU_CYCLE_1) | instskip(NEXT) | instid1(VALU_DEP_1)
	s_lshl_b32 s14, s2, 5
	v_lshlrev_b32_e32 v14, 2, v4
	s_not_b64 s[2:3], s[14:15]
	ds_store_b32 v14, v5
	s_wait_kmcnt 0x0
	s_add_nc_u64 s[16:17], s[12:13], s[2:3]
	s_wait_dscnt 0x0
	v_sub_nc_u64_e32 v[2:3], s[16:17], v[4:5]
	s_barrier_signal -1
	s_barrier_wait -1
	s_mov_b32 s2, exec_lo
	s_delay_alu instid0(VALU_DEP_1)
	v_cmpx_lt_i64_e32 -1, v[2:3]
	s_cbranch_execz .LBB14_32
; %bb.1:
	s_clause 0x1
	s_load_b64 s[4:5], s[0:1], 0x18
	s_load_b64 s[2:3], s[0:1], 0x8
	v_and_b32_e32 v15, 31, v0
	s_wait_kmcnt 0x0
	v_lshl_add_u64 v[0:1], v[2:3], 3, s[4:5]
	s_mov_b32 s4, exec_lo
	s_delay_alu instid0(VALU_DEP_2)
	v_cmpx_eq_u32_e32 0, v15
	s_cbranch_execz .LBB14_3
; %bb.2:
	v_mov_b64_e32 v[4:5], -1
	global_store_b64 v[0:1], v[4:5], off
.LBB14_3:
	s_wait_xcnt 0x0
	s_or_b32 exec_lo, exec_lo, s4
	v_lshl_add_u64 v[4:5], v[2:3], 3, s[2:3]
	s_load_b256 s[4:11], s[0:1], 0x20
	v_not_b32_e32 v10, v15
	s_mov_b32 s3, 0
	v_mov_b32_e32 v17, 0
	global_load_b128 v[6:9], v[4:5], off
	v_ashrrev_i32_e32 v11, 31, v10
	s_wait_kmcnt 0x0
	s_mov_b32 s2, s10
	s_mov_b32 s10, exec_lo
	s_wait_loadcnt 0x0
	v_sub_nc_u64_e64 v[4:5], v[8:9], s[2:3]
	v_sub_nc_u64_e64 v[6:7], v[6:7], s[2:3]
	s_delay_alu instid0(VALU_DEP_2) | instskip(NEXT) | instid1(VALU_DEP_1)
	v_add_nc_u64_e32 v[12:13], v[4:5], v[10:11]
	v_cmpx_ge_i64_e64 v[12:13], v[6:7]
	s_cbranch_execz .LBB14_22
; %bb.4:
	s_load_b64 s[0:1], s[0:1], 0x10
	v_mov_b32_e32 v17, 0
	s_mov_b64 s[18:19], 0xffffffffffffffe0
	s_mov_b32 s15, s3
                                        ; implicit-def: $sgpr13
                                        ; implicit-def: $sgpr21
                                        ; implicit-def: $sgpr20
	s_branch .LBB14_7
.LBB14_5:                               ;   in Loop: Header=BB14_7 Depth=1
	s_or_b32 exec_lo, exec_lo, s23
	v_add_nc_u64_e32 v[12:13], s[18:19], v[10:11]
	v_max_i32_e32 v17, v17, v16
	s_and_not1_b32 s21, s21, exec_lo
	s_and_not1_b32 s20, s20, exec_lo
	s_delay_alu instid0(VALU_DEP_2) | instskip(SKIP_1) | instid1(SALU_CYCLE_1)
	v_cmp_lt_i64_e32 vcc_lo, v[12:13], v[6:7]
	s_and_b32 s23, vcc_lo, exec_lo
	s_or_b32 s21, s21, s23
.LBB14_6:                               ;   in Loop: Header=BB14_7 Depth=1
	s_or_b32 exec_lo, exec_lo, s22
	s_delay_alu instid0(SALU_CYCLE_1) | instskip(NEXT) | instid1(SALU_CYCLE_1)
	s_and_b32 s22, exec_lo, s21
	s_or_b32 s15, s22, s15
	s_and_not1_b32 s13, s13, exec_lo
	s_and_b32 s22, s20, exec_lo
	s_delay_alu instid0(SALU_CYCLE_1)
	s_or_b32 s13, s13, s22
	s_and_not1_b32 exec_lo, exec_lo, s15
	s_cbranch_execz .LBB14_12
.LBB14_7:                               ; =>This Loop Header: Depth=1
                                        ;     Child Loop BB14_10 Depth 2
	v_mov_b64_e32 v[10:11], v[12:13]
	v_mov_b32_e32 v16, v17
	s_or_b32 s20, s20, exec_lo
	s_or_b32 s21, s21, exec_lo
	s_mov_b32 s22, exec_lo
                                        ; implicit-def: $vgpr12_vgpr13
                                        ; implicit-def: $vgpr17
	s_wait_kmcnt 0x0
	s_delay_alu instid0(VALU_DEP_2) | instskip(SKIP_3) | instid1(VALU_DEP_1)
	v_lshl_add_u64 v[8:9], v[10:11], 3, s[0:1]
	global_load_b64 v[8:9], v[8:9], off th:TH_LOAD_NT
	s_wait_loadcnt 0x0
	v_sub_nc_u64_e64 v[8:9], v[8:9], s[2:3]
	v_cmpx_lt_i64_e64 s[16:17], v[8:9]
	s_cbranch_execz .LBB14_6
; %bb.8:                                ;   in Loop: Header=BB14_7 Depth=1
	v_lshl_add_u64 v[12:13], v[8:9], 2, s[4:5]
	s_mov_b32 s23, exec_lo
	global_load_b32 v17, v[12:13], off scope:SCOPE_DEV
	s_wait_loadcnt 0x0
	v_cmpx_eq_u32_e32 0, v17
	s_cbranch_execz .LBB14_5
; %bb.9:                                ;   in Loop: Header=BB14_7 Depth=1
	s_mov_b32 s24, 0
.LBB14_10:                              ;   Parent Loop BB14_7 Depth=1
                                        ; =>  This Inner Loop Header: Depth=2
	global_load_b32 v17, v[12:13], off scope:SCOPE_DEV
	s_wait_loadcnt 0x0
	v_cmp_ne_u32_e32 vcc_lo, 0, v17
	s_or_b32 s24, vcc_lo, s24
	s_wait_xcnt 0x0
	s_and_not1_b32 exec_lo, exec_lo, s24
	s_cbranch_execnz .LBB14_10
; %bb.11:                               ;   in Loop: Header=BB14_7 Depth=1
	s_or_b32 exec_lo, exec_lo, s24
	s_branch .LBB14_5
.LBB14_12:
	s_or_b32 exec_lo, exec_lo, s15
	s_and_saveexec_b32 s0, s13
	s_delay_alu instid0(SALU_CYCLE_1)
	s_xor_b32 s0, exec_lo, s0
	s_cbranch_execz .LBB14_21
; %bb.13:
	s_mov_b32 s1, exec_lo
	v_cmpx_eq_u64_e64 v[8:9], v[2:3]
	s_cbranch_execz .LBB14_15
; %bb.14:
	global_store_b64 v[0:1], v[10:11], off
.LBB14_15:
	s_wait_xcnt 0x0
	s_or_b32 exec_lo, exec_lo, s1
	s_delay_alu instid0(SALU_CYCLE_1)
	s_mov_b32 s1, exec_lo
	v_cmpx_gt_i64_e64 v[8:9], v[2:3]
	s_cbranch_execz .LBB14_20
; %bb.16:
	s_xor_b32 s13, s14, 0x3fffffe0
	s_delay_alu instid0(SALU_CYCLE_1) | instskip(SKIP_3) | instid1(VALU_DEP_1)
	s_add_co_i32 s12, s12, s13
	s_mov_b32 s13, 0
	v_sub_nc_u32_e32 v8, s12, v8
	s_mov_b32 s12, exec_lo
	v_lshlrev_b32_e32 v9, 2, v8
	ds_load_b32 v8, v9 offset:124
	s_wait_dscnt 0x0
	v_cmpx_eq_u32_e32 0, v8
	s_cbranch_execz .LBB14_19
.LBB14_17:                              ; =>This Inner Loop Header: Depth=1
	ds_load_b32 v8, v9 offset:124
	s_wait_dscnt 0x0
	v_cmp_ne_u32_e32 vcc_lo, 0, v8
	s_or_b32 s13, vcc_lo, s13
	s_delay_alu instid0(SALU_CYCLE_1)
	s_and_not1_b32 exec_lo, exec_lo, s13
	s_cbranch_execnz .LBB14_17
; %bb.18:
	s_or_b32 exec_lo, exec_lo, s13
.LBB14_19:
	s_delay_alu instid0(SALU_CYCLE_1)
	s_or_b32 exec_lo, exec_lo, s12
	v_max_i32_e32 v16, v8, v16
.LBB14_20:
	s_or_b32 exec_lo, exec_lo, s1
	s_delay_alu instid0(VALU_DEP_1)
	v_mov_b32_e32 v17, v16
.LBB14_21:
	s_or_b32 exec_lo, exec_lo, s0
.LBB14_22:
	s_delay_alu instid0(SALU_CYCLE_1) | instskip(SKIP_2) | instid1(VALU_DEP_1)
	s_or_b32 exec_lo, exec_lo, s10
	v_mbcnt_lo_u32_b32 v8, -1, 0
	s_wait_storecnt 0x0
	v_xor_b32_e32 v10, 8, v8
	v_xor_b32_e32 v9, 16, v8
	;; [unrolled: 1-line block ×3, first 2 shown]
	s_delay_alu instid0(VALU_DEP_2) | instskip(SKIP_4) | instid1(VALU_DEP_2)
	v_cmp_gt_i32_e32 vcc_lo, 32, v9
	v_cndmask_b32_e32 v9, v8, v9, vcc_lo
	v_cmp_gt_i32_e32 vcc_lo, 32, v10
	v_cndmask_b32_e32 v10, v8, v10, vcc_lo
	v_cmp_gt_i32_e32 vcc_lo, 32, v11
	v_dual_lshlrev_b32 v10, 2, v10 :: v_dual_lshlrev_b32 v9, 2, v9
	v_cndmask_b32_e32 v11, v8, v11, vcc_lo
	ds_bpermute_b32 v9, v9, v17
	s_wait_dscnt 0x0
	v_dual_lshlrev_b32 v11, 2, v11 :: v_dual_max_i32 v9, v17, v9
	ds_bpermute_b32 v10, v10, v9
	s_wait_dscnt 0x0
	v_max_i32_e32 v9, v9, v10
	ds_bpermute_b32 v10, v11, v9
	v_xor_b32_e32 v11, 2, v8
	s_delay_alu instid0(VALU_DEP_1) | instskip(SKIP_2) | instid1(VALU_DEP_1)
	v_cmp_gt_i32_e32 vcc_lo, 32, v11
	v_cndmask_b32_e32 v11, v8, v11, vcc_lo
	s_wait_dscnt 0x0
	v_dual_lshlrev_b32 v11, 2, v11 :: v_dual_max_i32 v9, v9, v10
	ds_bpermute_b32 v10, v11, v9
	v_xor_b32_e32 v11, 1, v8
	s_delay_alu instid0(VALU_DEP_1) | instskip(SKIP_3) | instid1(VALU_DEP_2)
	v_cmp_gt_i32_e32 vcc_lo, 32, v11
	v_cndmask_b32_e32 v11, v8, v11, vcc_lo
	v_cmp_eq_u32_e32 vcc_lo, 31, v15
	s_wait_dscnt 0x0
	v_dual_lshlrev_b32 v9, 2, v11 :: v_dual_max_i32 v8, v9, v10
	ds_bpermute_b32 v9, v9, v8
	s_and_b32 exec_lo, exec_lo, vcc_lo
	s_cbranch_execz .LBB14_32
; %bb.23:
	s_wait_dscnt 0x0
	v_max_i32_e32 v8, v8, v9
	v_sub_nc_u64_e32 v[6:7], v[4:5], v[6:7]
	v_mov_b64_e32 v[4:5], 0
	s_mov_b32 s0, exec_lo
	s_delay_alu instid0(VALU_DEP_3)
	v_add_nc_u32_e32 v10, 1, v8
	v_lshl_add_u64 v[8:9], v[2:3], 2, s[4:5]
	ds_store_b32 v14, v10
	global_store_b32 v[8:9], v10, off scope:SCOPE_DEV
.LBB14_24:                              ; =>This Inner Loop Header: Depth=1
	s_ctz_i32_b32 s1, s0
	s_delay_alu instid0(SALU_CYCLE_1) | instskip(SKIP_2) | instid1(SALU_CYCLE_1)
	v_readlane_b32 s5, v7, s1
	v_readlane_b32 s4, v6, s1
	s_lshl_b32 s1, 1, s1
	s_and_not1_b32 s0, s0, s1
	v_max_u64 v[4:5], v[4:5], s[4:5]
	s_cmp_lg_u32 s0, 0
	s_cbranch_scc1 .LBB14_24
; %bb.25:
	v_mbcnt_lo_u32_b32 v6, exec_lo, 0
	s_mov_b32 s0, exec_lo
	s_wait_xcnt 0x0
	s_delay_alu instid0(VALU_DEP_1)
	v_cmpx_eq_u32_e32 0, v6
	s_xor_b32 s0, exec_lo, s0
	s_cbranch_execz .LBB14_27
; %bb.26:
	v_mov_b32_e32 v6, 0
	global_atomic_max_u64 v6, v[4:5], s[6:7] scope:SCOPE_DEV
.LBB14_27:
	s_wait_xcnt 0x0
	s_or_b32 exec_lo, exec_lo, s0
	global_load_b64 v[0:1], v[0:1], off
	s_cmp_eq_u32 s11, 0
	s_cselect_b32 s0, -1, 0
	s_wait_loadcnt 0x0
	v_cmp_eq_u64_e32 vcc_lo, -1, v[0:1]
	s_and_b32 s0, s0, vcc_lo
	s_wait_xcnt 0x0
	s_and_b32 exec_lo, exec_lo, s0
	s_cbranch_execz .LBB14_32
; %bb.28:
	v_add_nc_u64_e32 v[2:3], s[2:3], v[2:3]
	v_mov_b64_e32 v[0:1], -1
	s_mov_b32 s0, exec_lo
.LBB14_29:                              ; =>This Inner Loop Header: Depth=1
	s_delay_alu instid0(SALU_CYCLE_1)
	s_ctz_i32_b32 s1, s0
	s_delay_alu instid0(VALU_DEP_2) | instid1(SALU_CYCLE_1)
	v_readlane_b32 s3, v3, s1
	s_delay_alu instid0(VALU_DEP_3) | instskip(SKIP_1) | instid1(SALU_CYCLE_1)
	v_readlane_b32 s2, v2, s1
	s_lshl_b32 s1, 1, s1
	s_and_not1_b32 s0, s0, s1
	v_min_u64 v[0:1], v[0:1], s[2:3]
	s_cmp_lg_u32 s0, 0
	s_cbranch_scc1 .LBB14_29
; %bb.30:
	v_mbcnt_lo_u32_b32 v2, exec_lo, 0
	s_mov_b32 s0, exec_lo
	s_delay_alu instid0(VALU_DEP_1)
	v_cmpx_eq_u32_e32 0, v2
	s_xor_b32 s0, exec_lo, s0
	s_cbranch_execz .LBB14_32
; %bb.31:
	v_mov_b32_e32 v2, 0
	global_atomic_min_u64 v2, v[0:1], s[8:9] scope:SCOPE_DEV
.LBB14_32:
	s_endpgm
	.section	.rodata,"a",@progbits
	.p2align	6, 0x0
	.amdhsa_kernel _ZN9rocsparseL27csrsv_analysis_upper_kernelILj1024ELj32ELb0EllEEvT3_PKT2_PKS1_PS2_PiS7_PS1_21rocsparse_index_base_20rocsparse_diag_type_
		.amdhsa_group_segment_fixed_size 128
		.amdhsa_private_segment_fixed_size 0
		.amdhsa_kernarg_size 64
		.amdhsa_user_sgpr_count 2
		.amdhsa_user_sgpr_dispatch_ptr 0
		.amdhsa_user_sgpr_queue_ptr 0
		.amdhsa_user_sgpr_kernarg_segment_ptr 1
		.amdhsa_user_sgpr_dispatch_id 0
		.amdhsa_user_sgpr_kernarg_preload_length 0
		.amdhsa_user_sgpr_kernarg_preload_offset 0
		.amdhsa_user_sgpr_private_segment_size 0
		.amdhsa_wavefront_size32 1
		.amdhsa_uses_dynamic_stack 0
		.amdhsa_enable_private_segment 0
		.amdhsa_system_sgpr_workgroup_id_x 1
		.amdhsa_system_sgpr_workgroup_id_y 0
		.amdhsa_system_sgpr_workgroup_id_z 0
		.amdhsa_system_sgpr_workgroup_info 0
		.amdhsa_system_vgpr_workitem_id 0
		.amdhsa_next_free_vgpr 18
		.amdhsa_next_free_sgpr 25
		.amdhsa_named_barrier_count 0
		.amdhsa_reserve_vcc 1
		.amdhsa_float_round_mode_32 0
		.amdhsa_float_round_mode_16_64 0
		.amdhsa_float_denorm_mode_32 3
		.amdhsa_float_denorm_mode_16_64 3
		.amdhsa_fp16_overflow 0
		.amdhsa_memory_ordered 1
		.amdhsa_forward_progress 1
		.amdhsa_inst_pref_size 10
		.amdhsa_round_robin_scheduling 0
		.amdhsa_exception_fp_ieee_invalid_op 0
		.amdhsa_exception_fp_denorm_src 0
		.amdhsa_exception_fp_ieee_div_zero 0
		.amdhsa_exception_fp_ieee_overflow 0
		.amdhsa_exception_fp_ieee_underflow 0
		.amdhsa_exception_fp_ieee_inexact 0
		.amdhsa_exception_int_div_zero 0
	.end_amdhsa_kernel
	.section	.text._ZN9rocsparseL27csrsv_analysis_upper_kernelILj1024ELj32ELb0EllEEvT3_PKT2_PKS1_PS2_PiS7_PS1_21rocsparse_index_base_20rocsparse_diag_type_,"axG",@progbits,_ZN9rocsparseL27csrsv_analysis_upper_kernelILj1024ELj32ELb0EllEEvT3_PKT2_PKS1_PS2_PiS7_PS1_21rocsparse_index_base_20rocsparse_diag_type_,comdat
.Lfunc_end14:
	.size	_ZN9rocsparseL27csrsv_analysis_upper_kernelILj1024ELj32ELb0EllEEvT3_PKT2_PKS1_PS2_PiS7_PS1_21rocsparse_index_base_20rocsparse_diag_type_, .Lfunc_end14-_ZN9rocsparseL27csrsv_analysis_upper_kernelILj1024ELj32ELb0EllEEvT3_PKT2_PKS1_PS2_PiS7_PS1_21rocsparse_index_base_20rocsparse_diag_type_
                                        ; -- End function
	.set _ZN9rocsparseL27csrsv_analysis_upper_kernelILj1024ELj32ELb0EllEEvT3_PKT2_PKS1_PS2_PiS7_PS1_21rocsparse_index_base_20rocsparse_diag_type_.num_vgpr, 18
	.set _ZN9rocsparseL27csrsv_analysis_upper_kernelILj1024ELj32ELb0EllEEvT3_PKT2_PKS1_PS2_PiS7_PS1_21rocsparse_index_base_20rocsparse_diag_type_.num_agpr, 0
	.set _ZN9rocsparseL27csrsv_analysis_upper_kernelILj1024ELj32ELb0EllEEvT3_PKT2_PKS1_PS2_PiS7_PS1_21rocsparse_index_base_20rocsparse_diag_type_.numbered_sgpr, 25
	.set _ZN9rocsparseL27csrsv_analysis_upper_kernelILj1024ELj32ELb0EllEEvT3_PKT2_PKS1_PS2_PiS7_PS1_21rocsparse_index_base_20rocsparse_diag_type_.num_named_barrier, 0
	.set _ZN9rocsparseL27csrsv_analysis_upper_kernelILj1024ELj32ELb0EllEEvT3_PKT2_PKS1_PS2_PiS7_PS1_21rocsparse_index_base_20rocsparse_diag_type_.private_seg_size, 0
	.set _ZN9rocsparseL27csrsv_analysis_upper_kernelILj1024ELj32ELb0EllEEvT3_PKT2_PKS1_PS2_PiS7_PS1_21rocsparse_index_base_20rocsparse_diag_type_.uses_vcc, 1
	.set _ZN9rocsparseL27csrsv_analysis_upper_kernelILj1024ELj32ELb0EllEEvT3_PKT2_PKS1_PS2_PiS7_PS1_21rocsparse_index_base_20rocsparse_diag_type_.uses_flat_scratch, 0
	.set _ZN9rocsparseL27csrsv_analysis_upper_kernelILj1024ELj32ELb0EllEEvT3_PKT2_PKS1_PS2_PiS7_PS1_21rocsparse_index_base_20rocsparse_diag_type_.has_dyn_sized_stack, 0
	.set _ZN9rocsparseL27csrsv_analysis_upper_kernelILj1024ELj32ELb0EllEEvT3_PKT2_PKS1_PS2_PiS7_PS1_21rocsparse_index_base_20rocsparse_diag_type_.has_recursion, 0
	.set _ZN9rocsparseL27csrsv_analysis_upper_kernelILj1024ELj32ELb0EllEEvT3_PKT2_PKS1_PS2_PiS7_PS1_21rocsparse_index_base_20rocsparse_diag_type_.has_indirect_call, 0
	.section	.AMDGPU.csdata,"",@progbits
; Kernel info:
; codeLenInByte = 1276
; TotalNumSgprs: 27
; NumVgprs: 18
; ScratchSize: 0
; MemoryBound: 0
; FloatMode: 240
; IeeeMode: 1
; LDSByteSize: 128 bytes/workgroup (compile time only)
; SGPRBlocks: 0
; VGPRBlocks: 1
; NumSGPRsForWavesPerEU: 27
; NumVGPRsForWavesPerEU: 18
; NamedBarCnt: 0
; Occupancy: 16
; WaveLimiterHint : 1
; COMPUTE_PGM_RSRC2:SCRATCH_EN: 0
; COMPUTE_PGM_RSRC2:USER_SGPR: 2
; COMPUTE_PGM_RSRC2:TRAP_HANDLER: 0
; COMPUTE_PGM_RSRC2:TGID_X_EN: 1
; COMPUTE_PGM_RSRC2:TGID_Y_EN: 0
; COMPUTE_PGM_RSRC2:TGID_Z_EN: 0
; COMPUTE_PGM_RSRC2:TIDIG_COMP_CNT: 0
	.section	.text._ZN9rocsparseL27csrsv_analysis_lower_kernelILj1024ELj32ELb0EllEEvT3_PKT2_PKS1_PS2_PiS7_PS1_21rocsparse_index_base_20rocsparse_diag_type_,"axG",@progbits,_ZN9rocsparseL27csrsv_analysis_lower_kernelILj1024ELj32ELb0EllEEvT3_PKT2_PKS1_PS2_PiS7_PS1_21rocsparse_index_base_20rocsparse_diag_type_,comdat
	.globl	_ZN9rocsparseL27csrsv_analysis_lower_kernelILj1024ELj32ELb0EllEEvT3_PKT2_PKS1_PS2_PiS7_PS1_21rocsparse_index_base_20rocsparse_diag_type_ ; -- Begin function _ZN9rocsparseL27csrsv_analysis_lower_kernelILj1024ELj32ELb0EllEEvT3_PKT2_PKS1_PS2_PiS7_PS1_21rocsparse_index_base_20rocsparse_diag_type_
	.p2align	8
	.type	_ZN9rocsparseL27csrsv_analysis_lower_kernelILj1024ELj32ELb0EllEEvT3_PKT2_PKS1_PS2_PiS7_PS1_21rocsparse_index_base_20rocsparse_diag_type_,@function
_ZN9rocsparseL27csrsv_analysis_lower_kernelILj1024ELj32ELb0EllEEvT3_PKT2_PKS1_PS2_PiS7_PS1_21rocsparse_index_base_20rocsparse_diag_type_: ; @_ZN9rocsparseL27csrsv_analysis_lower_kernelILj1024ELj32ELb0EllEEvT3_PKT2_PKS1_PS2_PiS7_PS1_21rocsparse_index_base_20rocsparse_diag_type_
; %bb.0:
	s_load_b64 s[2:3], s[0:1], 0x0
	s_bfe_u32 s4, ttmp6, 0x4000c
	s_and_b32 s5, ttmp6, 15
	s_add_co_i32 s4, s4, 1
	s_getreg_b32 s6, hwreg(HW_REG_IB_STS2, 6, 4)
	s_mul_i32 s4, ttmp9, s4
	v_dual_lshrrev_b32 v1, 5, v0 :: v_dual_mov_b32 v3, 0
	s_add_co_i32 s5, s5, s4
	s_cmp_eq_u32 s6, 0
	s_cselect_b32 s4, ttmp9, s5
	s_delay_alu instid0(VALU_DEP_1) | instskip(SKIP_1) | instid1(SALU_CYCLE_1)
	v_lshlrev_b32_e32 v16, 2, v1
	s_lshl_b32 s12, s4, 5
	v_or_b32_e32 v2, s12, v1
	ds_store_b32 v16, v3
	s_wait_dscnt 0x0
	s_barrier_signal -1
	s_wait_kmcnt 0x0
	v_cmp_gt_i64_e32 vcc_lo, s[2:3], v[2:3]
	s_barrier_wait -1
	s_and_saveexec_b32 s2, vcc_lo
	s_cbranch_execz .LBB15_32
; %bb.1:
	s_clause 0x1
	s_load_b64 s[4:5], s[0:1], 0x18
	s_load_b64 s[2:3], s[0:1], 0x8
	v_and_b32_e32 v4, 31, v0
	s_wait_kmcnt 0x0
	v_lshl_add_u64 v[0:1], v[2:3], 3, s[4:5]
	s_mov_b32 s4, exec_lo
	s_delay_alu instid0(VALU_DEP_2)
	v_cmpx_eq_u32_e32 0, v4
	s_cbranch_execz .LBB15_3
; %bb.2:
	v_mov_b64_e32 v[6:7], -1
	global_store_b64 v[0:1], v[6:7], off
.LBB15_3:
	s_wait_xcnt 0x0
	s_or_b32 exec_lo, exec_lo, s4
	v_lshl_add_u64 v[6:7], v[2:3], 3, s[2:3]
	s_load_b256 s[4:11], s[0:1], 0x20
	s_mov_b32 s3, 0
	v_mov_b32_e32 v5, 0
	global_load_b128 v[6:9], v[6:7], off
	s_wait_kmcnt 0x0
	s_mov_b32 s2, s10
	s_mov_b32 s10, exec_lo
	s_wait_loadcnt 0x0
	v_sub_nc_u64_e64 v[6:7], v[6:7], s[2:3]
	v_sub_nc_u64_e64 v[8:9], v[8:9], s[2:3]
	s_delay_alu instid0(VALU_DEP_2) | instskip(NEXT) | instid1(VALU_DEP_1)
	v_add_nc_u64_e32 v[14:15], v[6:7], v[4:5]
	v_cmpx_lt_i64_e64 v[14:15], v[8:9]
	s_cbranch_execz .LBB15_22
; %bb.4:
	s_load_b64 s[0:1], s[0:1], 0x10
	v_mov_b32_e32 v5, 0
	s_mov_b32 s13, s3
	s_mov_b32 s15, s3
                                        ; implicit-def: $sgpr14
                                        ; implicit-def: $sgpr17
                                        ; implicit-def: $sgpr16
	s_branch .LBB15_7
.LBB15_5:                               ;   in Loop: Header=BB15_7 Depth=1
	s_or_b32 exec_lo, exec_lo, s19
	v_add_nc_u64_e32 v[14:15], 32, v[12:13]
	v_max_i32_e32 v5, v5, v17
	s_and_not1_b32 s17, s17, exec_lo
	s_and_not1_b32 s16, s16, exec_lo
	s_delay_alu instid0(VALU_DEP_2) | instskip(SKIP_1) | instid1(SALU_CYCLE_1)
	v_cmp_ge_i64_e32 vcc_lo, v[14:15], v[8:9]
	s_and_b32 s19, vcc_lo, exec_lo
	s_or_b32 s17, s17, s19
.LBB15_6:                               ;   in Loop: Header=BB15_7 Depth=1
	s_or_b32 exec_lo, exec_lo, s18
	s_delay_alu instid0(SALU_CYCLE_1) | instskip(NEXT) | instid1(SALU_CYCLE_1)
	s_and_b32 s18, exec_lo, s17
	s_or_b32 s15, s18, s15
	s_and_not1_b32 s14, s14, exec_lo
	s_and_b32 s18, s16, exec_lo
	s_delay_alu instid0(SALU_CYCLE_1)
	s_or_b32 s14, s14, s18
	s_and_not1_b32 exec_lo, exec_lo, s15
	s_cbranch_execz .LBB15_12
.LBB15_7:                               ; =>This Loop Header: Depth=1
                                        ;     Child Loop BB15_10 Depth 2
	v_mov_b64_e32 v[12:13], v[14:15]
	v_mov_b32_e32 v17, v5
	s_or_b32 s16, s16, exec_lo
	s_or_b32 s17, s17, exec_lo
	s_mov_b32 s18, exec_lo
                                        ; implicit-def: $vgpr14_vgpr15
	s_wait_kmcnt 0x0
	s_delay_alu instid0(VALU_DEP_2) | instskip(SKIP_3) | instid1(VALU_DEP_1)
	v_lshl_add_u64 v[10:11], v[12:13], 3, s[0:1]
	global_load_b64 v[10:11], v[10:11], off th:TH_LOAD_NT
	s_wait_loadcnt 0x0
	v_sub_nc_u64_e64 v[10:11], v[10:11], s[2:3]
	v_cmpx_gt_i64_e64 s[12:13], v[10:11]
	s_cbranch_execz .LBB15_6
; %bb.8:                                ;   in Loop: Header=BB15_7 Depth=1
	v_lshl_add_u64 v[14:15], v[10:11], 2, s[4:5]
	s_mov_b32 s19, exec_lo
	global_load_b32 v5, v[14:15], off scope:SCOPE_DEV
	s_wait_loadcnt 0x0
	v_cmpx_eq_u32_e32 0, v5
	s_cbranch_execz .LBB15_5
; %bb.9:                                ;   in Loop: Header=BB15_7 Depth=1
	s_mov_b32 s20, 0
.LBB15_10:                              ;   Parent Loop BB15_7 Depth=1
                                        ; =>  This Inner Loop Header: Depth=2
	global_load_b32 v5, v[14:15], off scope:SCOPE_DEV
	s_wait_loadcnt 0x0
	v_cmp_ne_u32_e32 vcc_lo, 0, v5
	s_or_b32 s20, vcc_lo, s20
	s_wait_xcnt 0x0
	s_and_not1_b32 exec_lo, exec_lo, s20
	s_cbranch_execnz .LBB15_10
; %bb.11:                               ;   in Loop: Header=BB15_7 Depth=1
	s_or_b32 exec_lo, exec_lo, s20
	s_branch .LBB15_5
.LBB15_12:
	s_or_b32 exec_lo, exec_lo, s15
	s_and_saveexec_b32 s0, s14
	s_delay_alu instid0(SALU_CYCLE_1)
	s_xor_b32 s0, exec_lo, s0
	s_cbranch_execz .LBB15_21
; %bb.13:
	s_mov_b32 s1, exec_lo
	v_cmpx_eq_u64_e64 v[10:11], v[2:3]
	s_cbranch_execz .LBB15_15
; %bb.14:
	global_store_b64 v[0:1], v[12:13], off
.LBB15_15:
	s_wait_xcnt 0x0
	s_or_b32 exec_lo, exec_lo, s1
	s_delay_alu instid0(SALU_CYCLE_1)
	s_mov_b32 s1, exec_lo
	v_cmpx_lt_i64_e64 v[10:11], v[2:3]
	s_cbranch_execz .LBB15_20
; %bb.16:
	v_subrev_nc_u32_e32 v5, s12, v10
	s_mov_b32 s13, 0
	s_mov_b32 s12, exec_lo
	s_delay_alu instid0(VALU_DEP_1)
	v_lshlrev_b32_e32 v10, 2, v5
	ds_load_b32 v5, v10
	s_wait_dscnt 0x0
	v_cmpx_eq_u32_e32 0, v5
	s_cbranch_execz .LBB15_19
.LBB15_17:                              ; =>This Inner Loop Header: Depth=1
	ds_load_b32 v5, v10
	s_wait_dscnt 0x0
	v_cmp_ne_u32_e32 vcc_lo, 0, v5
	s_or_b32 s13, vcc_lo, s13
	s_delay_alu instid0(SALU_CYCLE_1)
	s_and_not1_b32 exec_lo, exec_lo, s13
	s_cbranch_execnz .LBB15_17
; %bb.18:
	s_or_b32 exec_lo, exec_lo, s13
.LBB15_19:
	s_delay_alu instid0(SALU_CYCLE_1)
	s_or_b32 exec_lo, exec_lo, s12
	v_max_i32_e32 v17, v5, v17
.LBB15_20:
	s_or_b32 exec_lo, exec_lo, s1
	s_delay_alu instid0(VALU_DEP_1)
	v_mov_b32_e32 v5, v17
.LBB15_21:
	s_or_b32 exec_lo, exec_lo, s0
.LBB15_22:
	s_delay_alu instid0(SALU_CYCLE_1) | instskip(SKIP_2) | instid1(VALU_DEP_1)
	s_or_b32 exec_lo, exec_lo, s10
	v_mbcnt_lo_u32_b32 v10, -1, 0
	s_wait_storecnt 0x0
	v_xor_b32_e32 v12, 8, v10
	v_xor_b32_e32 v11, 16, v10
	s_delay_alu instid0(VALU_DEP_1) | instskip(SKIP_1) | instid1(VALU_DEP_4)
	v_cmp_gt_i32_e32 vcc_lo, 32, v11
	v_cndmask_b32_e32 v11, v10, v11, vcc_lo
	v_cmp_gt_i32_e32 vcc_lo, 32, v12
	v_cndmask_b32_e32 v12, v10, v12, vcc_lo
	s_delay_alu instid0(VALU_DEP_1)
	v_dual_lshlrev_b32 v12, 2, v12 :: v_dual_lshlrev_b32 v11, 2, v11
	ds_bpermute_b32 v11, v11, v5
	s_wait_dscnt 0x0
	v_max_i32_e32 v5, v5, v11
	ds_bpermute_b32 v11, v12, v5
	v_xor_b32_e32 v12, 4, v10
	s_delay_alu instid0(VALU_DEP_1) | instskip(SKIP_2) | instid1(VALU_DEP_1)
	v_cmp_gt_i32_e32 vcc_lo, 32, v12
	v_cndmask_b32_e32 v12, v10, v12, vcc_lo
	s_wait_dscnt 0x0
	v_dual_lshlrev_b32 v12, 2, v12 :: v_dual_max_i32 v5, v5, v11
	ds_bpermute_b32 v11, v12, v5
	v_xor_b32_e32 v12, 2, v10
	s_delay_alu instid0(VALU_DEP_1) | instskip(SKIP_2) | instid1(VALU_DEP_1)
	v_cmp_gt_i32_e32 vcc_lo, 32, v12
	s_wait_dscnt 0x0
	v_dual_cndmask_b32 v12, v10, v12 :: v_dual_max_i32 v5, v5, v11
	v_lshlrev_b32_e32 v12, 2, v12
	ds_bpermute_b32 v11, v12, v5
	v_xor_b32_e32 v12, 1, v10
	s_delay_alu instid0(VALU_DEP_1) | instskip(SKIP_3) | instid1(VALU_DEP_2)
	v_cmp_gt_i32_e32 vcc_lo, 32, v12
	v_cndmask_b32_e32 v10, v10, v12, vcc_lo
	v_cmp_eq_u32_e32 vcc_lo, 31, v4
	s_wait_dscnt 0x0
	v_dual_lshlrev_b32 v10, 2, v10 :: v_dual_max_i32 v5, v5, v11
	ds_bpermute_b32 v10, v10, v5
	s_and_b32 exec_lo, exec_lo, vcc_lo
	s_cbranch_execz .LBB15_32
; %bb.23:
	s_wait_dscnt 0x0
	v_max_i32_e32 v10, v5, v10
	v_sub_nc_u64_e32 v[6:7], v[8:9], v[6:7]
	v_mov_b64_e32 v[4:5], 0
	v_lshl_add_u64 v[8:9], v[2:3], 2, s[4:5]
	s_mov_b32 s0, exec_lo
	v_add_nc_u32_e32 v10, 1, v10
	ds_store_b32 v16, v10
	global_store_b32 v[8:9], v10, off scope:SCOPE_DEV
.LBB15_24:                              ; =>This Inner Loop Header: Depth=1
	s_ctz_i32_b32 s1, s0
	s_delay_alu instid0(SALU_CYCLE_1) | instskip(SKIP_2) | instid1(SALU_CYCLE_1)
	v_readlane_b32 s5, v7, s1
	v_readlane_b32 s4, v6, s1
	s_lshl_b32 s1, 1, s1
	s_and_not1_b32 s0, s0, s1
	v_max_u64 v[4:5], v[4:5], s[4:5]
	s_cmp_lg_u32 s0, 0
	s_cbranch_scc1 .LBB15_24
; %bb.25:
	v_mbcnt_lo_u32_b32 v6, exec_lo, 0
	s_mov_b32 s0, exec_lo
	s_wait_xcnt 0x0
	s_delay_alu instid0(VALU_DEP_1)
	v_cmpx_eq_u32_e32 0, v6
	s_xor_b32 s0, exec_lo, s0
	s_cbranch_execz .LBB15_27
; %bb.26:
	v_mov_b32_e32 v6, 0
	global_atomic_max_u64 v6, v[4:5], s[6:7] scope:SCOPE_DEV
.LBB15_27:
	s_wait_xcnt 0x0
	s_or_b32 exec_lo, exec_lo, s0
	global_load_b64 v[0:1], v[0:1], off
	s_cmp_eq_u32 s11, 0
	s_cselect_b32 s0, -1, 0
	s_wait_loadcnt 0x0
	v_cmp_eq_u64_e32 vcc_lo, -1, v[0:1]
	s_and_b32 s0, s0, vcc_lo
	s_wait_xcnt 0x0
	s_and_b32 exec_lo, exec_lo, s0
	s_cbranch_execz .LBB15_32
; %bb.28:
	v_add_nc_u64_e32 v[2:3], s[2:3], v[2:3]
	v_mov_b64_e32 v[0:1], -1
	s_mov_b32 s0, exec_lo
.LBB15_29:                              ; =>This Inner Loop Header: Depth=1
	s_delay_alu instid0(SALU_CYCLE_1)
	s_ctz_i32_b32 s1, s0
	s_delay_alu instid0(VALU_DEP_2) | instid1(SALU_CYCLE_1)
	v_readlane_b32 s3, v3, s1
	s_delay_alu instid0(VALU_DEP_3) | instskip(SKIP_1) | instid1(SALU_CYCLE_1)
	v_readlane_b32 s2, v2, s1
	s_lshl_b32 s1, 1, s1
	s_and_not1_b32 s0, s0, s1
	v_min_u64 v[0:1], v[0:1], s[2:3]
	s_cmp_lg_u32 s0, 0
	s_cbranch_scc1 .LBB15_29
; %bb.30:
	v_mbcnt_lo_u32_b32 v2, exec_lo, 0
	s_mov_b32 s0, exec_lo
	s_delay_alu instid0(VALU_DEP_1)
	v_cmpx_eq_u32_e32 0, v2
	s_xor_b32 s0, exec_lo, s0
	s_cbranch_execz .LBB15_32
; %bb.31:
	v_mov_b32_e32 v2, 0
	global_atomic_min_u64 v2, v[0:1], s[8:9] scope:SCOPE_DEV
.LBB15_32:
	s_endpgm
	.section	.rodata,"a",@progbits
	.p2align	6, 0x0
	.amdhsa_kernel _ZN9rocsparseL27csrsv_analysis_lower_kernelILj1024ELj32ELb0EllEEvT3_PKT2_PKS1_PS2_PiS7_PS1_21rocsparse_index_base_20rocsparse_diag_type_
		.amdhsa_group_segment_fixed_size 128
		.amdhsa_private_segment_fixed_size 0
		.amdhsa_kernarg_size 64
		.amdhsa_user_sgpr_count 2
		.amdhsa_user_sgpr_dispatch_ptr 0
		.amdhsa_user_sgpr_queue_ptr 0
		.amdhsa_user_sgpr_kernarg_segment_ptr 1
		.amdhsa_user_sgpr_dispatch_id 0
		.amdhsa_user_sgpr_kernarg_preload_length 0
		.amdhsa_user_sgpr_kernarg_preload_offset 0
		.amdhsa_user_sgpr_private_segment_size 0
		.amdhsa_wavefront_size32 1
		.amdhsa_uses_dynamic_stack 0
		.amdhsa_enable_private_segment 0
		.amdhsa_system_sgpr_workgroup_id_x 1
		.amdhsa_system_sgpr_workgroup_id_y 0
		.amdhsa_system_sgpr_workgroup_id_z 0
		.amdhsa_system_sgpr_workgroup_info 0
		.amdhsa_system_vgpr_workitem_id 0
		.amdhsa_next_free_vgpr 18
		.amdhsa_next_free_sgpr 21
		.amdhsa_named_barrier_count 0
		.amdhsa_reserve_vcc 1
		.amdhsa_float_round_mode_32 0
		.amdhsa_float_round_mode_16_64 0
		.amdhsa_float_denorm_mode_32 3
		.amdhsa_float_denorm_mode_16_64 3
		.amdhsa_fp16_overflow 0
		.amdhsa_memory_ordered 1
		.amdhsa_forward_progress 1
		.amdhsa_inst_pref_size 10
		.amdhsa_round_robin_scheduling 0
		.amdhsa_exception_fp_ieee_invalid_op 0
		.amdhsa_exception_fp_denorm_src 0
		.amdhsa_exception_fp_ieee_div_zero 0
		.amdhsa_exception_fp_ieee_overflow 0
		.amdhsa_exception_fp_ieee_underflow 0
		.amdhsa_exception_fp_ieee_inexact 0
		.amdhsa_exception_int_div_zero 0
	.end_amdhsa_kernel
	.section	.text._ZN9rocsparseL27csrsv_analysis_lower_kernelILj1024ELj32ELb0EllEEvT3_PKT2_PKS1_PS2_PiS7_PS1_21rocsparse_index_base_20rocsparse_diag_type_,"axG",@progbits,_ZN9rocsparseL27csrsv_analysis_lower_kernelILj1024ELj32ELb0EllEEvT3_PKT2_PKS1_PS2_PiS7_PS1_21rocsparse_index_base_20rocsparse_diag_type_,comdat
.Lfunc_end15:
	.size	_ZN9rocsparseL27csrsv_analysis_lower_kernelILj1024ELj32ELb0EllEEvT3_PKT2_PKS1_PS2_PiS7_PS1_21rocsparse_index_base_20rocsparse_diag_type_, .Lfunc_end15-_ZN9rocsparseL27csrsv_analysis_lower_kernelILj1024ELj32ELb0EllEEvT3_PKT2_PKS1_PS2_PiS7_PS1_21rocsparse_index_base_20rocsparse_diag_type_
                                        ; -- End function
	.set _ZN9rocsparseL27csrsv_analysis_lower_kernelILj1024ELj32ELb0EllEEvT3_PKT2_PKS1_PS2_PiS7_PS1_21rocsparse_index_base_20rocsparse_diag_type_.num_vgpr, 18
	.set _ZN9rocsparseL27csrsv_analysis_lower_kernelILj1024ELj32ELb0EllEEvT3_PKT2_PKS1_PS2_PiS7_PS1_21rocsparse_index_base_20rocsparse_diag_type_.num_agpr, 0
	.set _ZN9rocsparseL27csrsv_analysis_lower_kernelILj1024ELj32ELb0EllEEvT3_PKT2_PKS1_PS2_PiS7_PS1_21rocsparse_index_base_20rocsparse_diag_type_.numbered_sgpr, 21
	.set _ZN9rocsparseL27csrsv_analysis_lower_kernelILj1024ELj32ELb0EllEEvT3_PKT2_PKS1_PS2_PiS7_PS1_21rocsparse_index_base_20rocsparse_diag_type_.num_named_barrier, 0
	.set _ZN9rocsparseL27csrsv_analysis_lower_kernelILj1024ELj32ELb0EllEEvT3_PKT2_PKS1_PS2_PiS7_PS1_21rocsparse_index_base_20rocsparse_diag_type_.private_seg_size, 0
	.set _ZN9rocsparseL27csrsv_analysis_lower_kernelILj1024ELj32ELb0EllEEvT3_PKT2_PKS1_PS2_PiS7_PS1_21rocsparse_index_base_20rocsparse_diag_type_.uses_vcc, 1
	.set _ZN9rocsparseL27csrsv_analysis_lower_kernelILj1024ELj32ELb0EllEEvT3_PKT2_PKS1_PS2_PiS7_PS1_21rocsparse_index_base_20rocsparse_diag_type_.uses_flat_scratch, 0
	.set _ZN9rocsparseL27csrsv_analysis_lower_kernelILj1024ELj32ELb0EllEEvT3_PKT2_PKS1_PS2_PiS7_PS1_21rocsparse_index_base_20rocsparse_diag_type_.has_dyn_sized_stack, 0
	.set _ZN9rocsparseL27csrsv_analysis_lower_kernelILj1024ELj32ELb0EllEEvT3_PKT2_PKS1_PS2_PiS7_PS1_21rocsparse_index_base_20rocsparse_diag_type_.has_recursion, 0
	.set _ZN9rocsparseL27csrsv_analysis_lower_kernelILj1024ELj32ELb0EllEEvT3_PKT2_PKS1_PS2_PiS7_PS1_21rocsparse_index_base_20rocsparse_diag_type_.has_indirect_call, 0
	.section	.AMDGPU.csdata,"",@progbits
; Kernel info:
; codeLenInByte = 1240
; TotalNumSgprs: 23
; NumVgprs: 18
; ScratchSize: 0
; MemoryBound: 0
; FloatMode: 240
; IeeeMode: 1
; LDSByteSize: 128 bytes/workgroup (compile time only)
; SGPRBlocks: 0
; VGPRBlocks: 1
; NumSGPRsForWavesPerEU: 23
; NumVGPRsForWavesPerEU: 18
; NamedBarCnt: 0
; Occupancy: 16
; WaveLimiterHint : 1
; COMPUTE_PGM_RSRC2:SCRATCH_EN: 0
; COMPUTE_PGM_RSRC2:USER_SGPR: 2
; COMPUTE_PGM_RSRC2:TRAP_HANDLER: 0
; COMPUTE_PGM_RSRC2:TGID_X_EN: 1
; COMPUTE_PGM_RSRC2:TGID_Y_EN: 0
; COMPUTE_PGM_RSRC2:TGID_Z_EN: 0
; COMPUTE_PGM_RSRC2:TIDIG_COMP_CNT: 0
	.section	.text._ZN9rocsparseL27csrsv_analysis_upper_kernelILj1024ELj64ELb0EllEEvT3_PKT2_PKS1_PS2_PiS7_PS1_21rocsparse_index_base_20rocsparse_diag_type_,"axG",@progbits,_ZN9rocsparseL27csrsv_analysis_upper_kernelILj1024ELj64ELb0EllEEvT3_PKT2_PKS1_PS2_PiS7_PS1_21rocsparse_index_base_20rocsparse_diag_type_,comdat
	.globl	_ZN9rocsparseL27csrsv_analysis_upper_kernelILj1024ELj64ELb0EllEEvT3_PKT2_PKS1_PS2_PiS7_PS1_21rocsparse_index_base_20rocsparse_diag_type_ ; -- Begin function _ZN9rocsparseL27csrsv_analysis_upper_kernelILj1024ELj64ELb0EllEEvT3_PKT2_PKS1_PS2_PiS7_PS1_21rocsparse_index_base_20rocsparse_diag_type_
	.p2align	8
	.type	_ZN9rocsparseL27csrsv_analysis_upper_kernelILj1024ELj64ELb0EllEEvT3_PKT2_PKS1_PS2_PiS7_PS1_21rocsparse_index_base_20rocsparse_diag_type_,@function
_ZN9rocsparseL27csrsv_analysis_upper_kernelILj1024ELj64ELb0EllEEvT3_PKT2_PKS1_PS2_PiS7_PS1_21rocsparse_index_base_20rocsparse_diag_type_: ; @_ZN9rocsparseL27csrsv_analysis_upper_kernelILj1024ELj64ELb0EllEEvT3_PKT2_PKS1_PS2_PiS7_PS1_21rocsparse_index_base_20rocsparse_diag_type_
; %bb.0:
	s_load_b64 s[12:13], s[0:1], 0x0
	s_bfe_u32 s2, ttmp6, 0x4000c
	s_and_b32 s3, ttmp6, 15
	s_add_co_i32 s2, s2, 1
	s_getreg_b32 s4, hwreg(HW_REG_IB_STS2, 6, 4)
	s_mul_i32 s2, ttmp9, s2
	s_mov_b32 s15, 0
	s_add_co_i32 s3, s3, s2
	s_cmp_eq_u32 s4, 0
	v_dual_mov_b32 v5, 0 :: v_dual_lshrrev_b32 v4, 6, v0
	s_cselect_b32 s2, ttmp9, s3
	s_delay_alu instid0(SALU_CYCLE_1) | instskip(NEXT) | instid1(VALU_DEP_1)
	s_lshl_b32 s14, s2, 4
	v_lshlrev_b32_e32 v14, 2, v4
	s_not_b64 s[2:3], s[14:15]
	ds_store_b32 v14, v5
	s_wait_kmcnt 0x0
	s_add_nc_u64 s[16:17], s[12:13], s[2:3]
	s_wait_dscnt 0x0
	v_sub_nc_u64_e32 v[2:3], s[16:17], v[4:5]
	s_barrier_signal -1
	s_barrier_wait -1
	s_mov_b32 s2, exec_lo
	s_delay_alu instid0(VALU_DEP_1)
	v_cmpx_lt_i64_e32 -1, v[2:3]
	s_cbranch_execz .LBB16_32
; %bb.1:
	s_clause 0x1
	s_load_b64 s[4:5], s[0:1], 0x18
	s_load_b64 s[2:3], s[0:1], 0x8
	v_and_b32_e32 v15, 63, v0
	s_wait_kmcnt 0x0
	v_lshl_add_u64 v[0:1], v[2:3], 3, s[4:5]
	s_mov_b32 s4, exec_lo
	s_delay_alu instid0(VALU_DEP_2)
	v_cmpx_eq_u32_e32 0, v15
	s_cbranch_execz .LBB16_3
; %bb.2:
	v_mov_b64_e32 v[4:5], -1
	global_store_b64 v[0:1], v[4:5], off
.LBB16_3:
	s_wait_xcnt 0x0
	s_or_b32 exec_lo, exec_lo, s4
	v_lshl_add_u64 v[4:5], v[2:3], 3, s[2:3]
	s_load_b256 s[4:11], s[0:1], 0x20
	v_not_b32_e32 v10, v15
	s_mov_b32 s3, 0
	v_mov_b32_e32 v17, 0
	global_load_b128 v[6:9], v[4:5], off
	v_ashrrev_i32_e32 v11, 31, v10
	s_wait_kmcnt 0x0
	s_mov_b32 s2, s10
	s_mov_b32 s10, exec_lo
	s_wait_loadcnt 0x0
	v_sub_nc_u64_e64 v[4:5], v[8:9], s[2:3]
	v_sub_nc_u64_e64 v[6:7], v[6:7], s[2:3]
	s_delay_alu instid0(VALU_DEP_2) | instskip(NEXT) | instid1(VALU_DEP_1)
	v_add_nc_u64_e32 v[12:13], v[4:5], v[10:11]
	v_cmpx_ge_i64_e64 v[12:13], v[6:7]
	s_cbranch_execz .LBB16_22
; %bb.4:
	s_load_b64 s[0:1], s[0:1], 0x10
	v_mov_b32_e32 v17, 0
	s_mov_b64 s[18:19], 0xffffffffffffffc0
	s_mov_b32 s15, s3
                                        ; implicit-def: $sgpr13
                                        ; implicit-def: $sgpr21
                                        ; implicit-def: $sgpr20
	s_branch .LBB16_7
.LBB16_5:                               ;   in Loop: Header=BB16_7 Depth=1
	s_or_b32 exec_lo, exec_lo, s23
	v_add_nc_u64_e32 v[12:13], s[18:19], v[10:11]
	v_max_i32_e32 v17, v17, v16
	s_and_not1_b32 s21, s21, exec_lo
	s_and_not1_b32 s20, s20, exec_lo
	s_delay_alu instid0(VALU_DEP_2) | instskip(SKIP_1) | instid1(SALU_CYCLE_1)
	v_cmp_lt_i64_e32 vcc_lo, v[12:13], v[6:7]
	s_and_b32 s23, vcc_lo, exec_lo
	s_or_b32 s21, s21, s23
.LBB16_6:                               ;   in Loop: Header=BB16_7 Depth=1
	s_or_b32 exec_lo, exec_lo, s22
	s_delay_alu instid0(SALU_CYCLE_1) | instskip(NEXT) | instid1(SALU_CYCLE_1)
	s_and_b32 s22, exec_lo, s21
	s_or_b32 s15, s22, s15
	s_and_not1_b32 s13, s13, exec_lo
	s_and_b32 s22, s20, exec_lo
	s_delay_alu instid0(SALU_CYCLE_1)
	s_or_b32 s13, s13, s22
	s_and_not1_b32 exec_lo, exec_lo, s15
	s_cbranch_execz .LBB16_12
.LBB16_7:                               ; =>This Loop Header: Depth=1
                                        ;     Child Loop BB16_10 Depth 2
	v_mov_b64_e32 v[10:11], v[12:13]
	v_mov_b32_e32 v16, v17
	s_or_b32 s20, s20, exec_lo
	s_or_b32 s21, s21, exec_lo
	s_mov_b32 s22, exec_lo
                                        ; implicit-def: $vgpr12_vgpr13
                                        ; implicit-def: $vgpr17
	s_wait_kmcnt 0x0
	s_delay_alu instid0(VALU_DEP_2) | instskip(SKIP_3) | instid1(VALU_DEP_1)
	v_lshl_add_u64 v[8:9], v[10:11], 3, s[0:1]
	global_load_b64 v[8:9], v[8:9], off th:TH_LOAD_NT
	s_wait_loadcnt 0x0
	v_sub_nc_u64_e64 v[8:9], v[8:9], s[2:3]
	v_cmpx_lt_i64_e64 s[16:17], v[8:9]
	s_cbranch_execz .LBB16_6
; %bb.8:                                ;   in Loop: Header=BB16_7 Depth=1
	v_lshl_add_u64 v[12:13], v[8:9], 2, s[4:5]
	s_mov_b32 s23, exec_lo
	global_load_b32 v17, v[12:13], off scope:SCOPE_DEV
	s_wait_loadcnt 0x0
	v_cmpx_eq_u32_e32 0, v17
	s_cbranch_execz .LBB16_5
; %bb.9:                                ;   in Loop: Header=BB16_7 Depth=1
	s_mov_b32 s24, 0
.LBB16_10:                              ;   Parent Loop BB16_7 Depth=1
                                        ; =>  This Inner Loop Header: Depth=2
	global_load_b32 v17, v[12:13], off scope:SCOPE_DEV
	s_wait_loadcnt 0x0
	v_cmp_ne_u32_e32 vcc_lo, 0, v17
	s_or_b32 s24, vcc_lo, s24
	s_wait_xcnt 0x0
	s_and_not1_b32 exec_lo, exec_lo, s24
	s_cbranch_execnz .LBB16_10
; %bb.11:                               ;   in Loop: Header=BB16_7 Depth=1
	s_or_b32 exec_lo, exec_lo, s24
	s_branch .LBB16_5
.LBB16_12:
	s_or_b32 exec_lo, exec_lo, s15
	s_and_saveexec_b32 s0, s13
	s_delay_alu instid0(SALU_CYCLE_1)
	s_xor_b32 s0, exec_lo, s0
	s_cbranch_execz .LBB16_21
; %bb.13:
	s_mov_b32 s1, exec_lo
	v_cmpx_eq_u64_e64 v[8:9], v[2:3]
	s_cbranch_execz .LBB16_15
; %bb.14:
	global_store_b64 v[0:1], v[10:11], off
.LBB16_15:
	s_wait_xcnt 0x0
	s_or_b32 exec_lo, exec_lo, s1
	s_delay_alu instid0(SALU_CYCLE_1)
	s_mov_b32 s1, exec_lo
	v_cmpx_gt_i64_e64 v[8:9], v[2:3]
	s_cbranch_execz .LBB16_20
; %bb.16:
	s_xor_b32 s13, s14, 0x3ffffff0
	s_delay_alu instid0(SALU_CYCLE_1) | instskip(SKIP_3) | instid1(VALU_DEP_1)
	s_add_co_i32 s12, s12, s13
	s_mov_b32 s13, 0
	v_sub_nc_u32_e32 v8, s12, v8
	s_mov_b32 s12, exec_lo
	v_lshlrev_b32_e32 v9, 2, v8
	ds_load_b32 v8, v9 offset:60
	s_wait_dscnt 0x0
	v_cmpx_eq_u32_e32 0, v8
	s_cbranch_execz .LBB16_19
.LBB16_17:                              ; =>This Inner Loop Header: Depth=1
	ds_load_b32 v8, v9 offset:60
	s_wait_dscnt 0x0
	v_cmp_ne_u32_e32 vcc_lo, 0, v8
	s_or_b32 s13, vcc_lo, s13
	s_delay_alu instid0(SALU_CYCLE_1)
	s_and_not1_b32 exec_lo, exec_lo, s13
	s_cbranch_execnz .LBB16_17
; %bb.18:
	s_or_b32 exec_lo, exec_lo, s13
.LBB16_19:
	s_delay_alu instid0(SALU_CYCLE_1)
	s_or_b32 exec_lo, exec_lo, s12
	v_max_i32_e32 v16, v8, v16
.LBB16_20:
	s_or_b32 exec_lo, exec_lo, s1
	s_delay_alu instid0(VALU_DEP_1)
	v_mov_b32_e32 v17, v16
.LBB16_21:
	s_or_b32 exec_lo, exec_lo, s0
.LBB16_22:
	s_delay_alu instid0(SALU_CYCLE_1) | instskip(SKIP_2) | instid1(VALU_DEP_1)
	s_or_b32 exec_lo, exec_lo, s10
	v_mbcnt_lo_u32_b32 v8, -1, 0
	s_wait_storecnt 0x0
	v_xor_b32_e32 v10, 16, v8
	v_or_b32_e32 v9, 32, v8
	v_xor_b32_e32 v11, 8, v8
	s_delay_alu instid0(VALU_DEP_2) | instskip(SKIP_4) | instid1(VALU_DEP_2)
	v_cmp_gt_i32_e32 vcc_lo, 32, v9
	v_cndmask_b32_e32 v9, v8, v9, vcc_lo
	v_cmp_gt_i32_e32 vcc_lo, 32, v10
	v_cndmask_b32_e32 v10, v8, v10, vcc_lo
	v_cmp_gt_i32_e32 vcc_lo, 32, v11
	v_dual_lshlrev_b32 v10, 2, v10 :: v_dual_lshlrev_b32 v9, 2, v9
	v_cndmask_b32_e32 v11, v8, v11, vcc_lo
	ds_bpermute_b32 v9, v9, v17
	s_wait_dscnt 0x0
	v_dual_lshlrev_b32 v11, 2, v11 :: v_dual_max_i32 v9, v17, v9
	ds_bpermute_b32 v10, v10, v9
	s_wait_dscnt 0x0
	v_max_i32_e32 v9, v9, v10
	ds_bpermute_b32 v10, v11, v9
	v_xor_b32_e32 v11, 4, v8
	s_delay_alu instid0(VALU_DEP_1) | instskip(SKIP_2) | instid1(VALU_DEP_1)
	v_cmp_gt_i32_e32 vcc_lo, 32, v11
	v_cndmask_b32_e32 v11, v8, v11, vcc_lo
	s_wait_dscnt 0x0
	v_dual_lshlrev_b32 v11, 2, v11 :: v_dual_max_i32 v9, v9, v10
	ds_bpermute_b32 v10, v11, v9
	v_xor_b32_e32 v11, 2, v8
	s_delay_alu instid0(VALU_DEP_1) | instskip(SKIP_2) | instid1(VALU_DEP_1)
	v_cmp_gt_i32_e32 vcc_lo, 32, v11
	s_wait_dscnt 0x0
	v_dual_cndmask_b32 v11, v8, v11, vcc_lo :: v_dual_max_i32 v9, v9, v10
	v_lshlrev_b32_e32 v11, 2, v11
	ds_bpermute_b32 v10, v11, v9
	v_xor_b32_e32 v11, 1, v8
	s_delay_alu instid0(VALU_DEP_1) | instskip(SKIP_3) | instid1(VALU_DEP_2)
	v_cmp_gt_i32_e32 vcc_lo, 32, v11
	v_cndmask_b32_e32 v11, v8, v11, vcc_lo
	v_cmp_eq_u32_e32 vcc_lo, 63, v15
	s_wait_dscnt 0x0
	v_dual_lshlrev_b32 v9, 2, v11 :: v_dual_max_i32 v8, v9, v10
	ds_bpermute_b32 v9, v9, v8
	s_and_b32 exec_lo, exec_lo, vcc_lo
	s_cbranch_execz .LBB16_32
; %bb.23:
	s_wait_dscnt 0x0
	v_max_i32_e32 v8, v8, v9
	v_sub_nc_u64_e32 v[6:7], v[4:5], v[6:7]
	v_mov_b64_e32 v[4:5], 0
	s_mov_b32 s0, exec_lo
	s_delay_alu instid0(VALU_DEP_3)
	v_add_nc_u32_e32 v10, 1, v8
	v_lshl_add_u64 v[8:9], v[2:3], 2, s[4:5]
	ds_store_b32 v14, v10
	global_store_b32 v[8:9], v10, off scope:SCOPE_DEV
.LBB16_24:                              ; =>This Inner Loop Header: Depth=1
	s_ctz_i32_b32 s1, s0
	s_delay_alu instid0(SALU_CYCLE_1) | instskip(SKIP_2) | instid1(SALU_CYCLE_1)
	v_readlane_b32 s5, v7, s1
	v_readlane_b32 s4, v6, s1
	s_lshl_b32 s1, 1, s1
	s_and_not1_b32 s0, s0, s1
	v_max_u64 v[4:5], v[4:5], s[4:5]
	s_cmp_lg_u32 s0, 0
	s_cbranch_scc1 .LBB16_24
; %bb.25:
	v_mbcnt_lo_u32_b32 v6, exec_lo, 0
	s_mov_b32 s0, exec_lo
	s_wait_xcnt 0x0
	s_delay_alu instid0(VALU_DEP_1)
	v_cmpx_eq_u32_e32 0, v6
	s_xor_b32 s0, exec_lo, s0
	s_cbranch_execz .LBB16_27
; %bb.26:
	v_mov_b32_e32 v6, 0
	global_atomic_max_u64 v6, v[4:5], s[6:7] scope:SCOPE_DEV
.LBB16_27:
	s_wait_xcnt 0x0
	s_or_b32 exec_lo, exec_lo, s0
	global_load_b64 v[0:1], v[0:1], off
	s_cmp_eq_u32 s11, 0
	s_cselect_b32 s0, -1, 0
	s_wait_loadcnt 0x0
	v_cmp_eq_u64_e32 vcc_lo, -1, v[0:1]
	s_and_b32 s0, s0, vcc_lo
	s_wait_xcnt 0x0
	s_and_b32 exec_lo, exec_lo, s0
	s_cbranch_execz .LBB16_32
; %bb.28:
	v_add_nc_u64_e32 v[2:3], s[2:3], v[2:3]
	v_mov_b64_e32 v[0:1], -1
	s_mov_b32 s0, exec_lo
.LBB16_29:                              ; =>This Inner Loop Header: Depth=1
	s_delay_alu instid0(SALU_CYCLE_1)
	s_ctz_i32_b32 s1, s0
	s_delay_alu instid0(VALU_DEP_2) | instid1(SALU_CYCLE_1)
	v_readlane_b32 s3, v3, s1
	s_delay_alu instid0(VALU_DEP_3) | instskip(SKIP_1) | instid1(SALU_CYCLE_1)
	v_readlane_b32 s2, v2, s1
	s_lshl_b32 s1, 1, s1
	s_and_not1_b32 s0, s0, s1
	v_min_u64 v[0:1], v[0:1], s[2:3]
	s_cmp_lg_u32 s0, 0
	s_cbranch_scc1 .LBB16_29
; %bb.30:
	v_mbcnt_lo_u32_b32 v2, exec_lo, 0
	s_mov_b32 s0, exec_lo
	s_delay_alu instid0(VALU_DEP_1)
	v_cmpx_eq_u32_e32 0, v2
	s_xor_b32 s0, exec_lo, s0
	s_cbranch_execz .LBB16_32
; %bb.31:
	v_mov_b32_e32 v2, 0
	global_atomic_min_u64 v2, v[0:1], s[8:9] scope:SCOPE_DEV
.LBB16_32:
	s_endpgm
	.section	.rodata,"a",@progbits
	.p2align	6, 0x0
	.amdhsa_kernel _ZN9rocsparseL27csrsv_analysis_upper_kernelILj1024ELj64ELb0EllEEvT3_PKT2_PKS1_PS2_PiS7_PS1_21rocsparse_index_base_20rocsparse_diag_type_
		.amdhsa_group_segment_fixed_size 64
		.amdhsa_private_segment_fixed_size 0
		.amdhsa_kernarg_size 64
		.amdhsa_user_sgpr_count 2
		.amdhsa_user_sgpr_dispatch_ptr 0
		.amdhsa_user_sgpr_queue_ptr 0
		.amdhsa_user_sgpr_kernarg_segment_ptr 1
		.amdhsa_user_sgpr_dispatch_id 0
		.amdhsa_user_sgpr_kernarg_preload_length 0
		.amdhsa_user_sgpr_kernarg_preload_offset 0
		.amdhsa_user_sgpr_private_segment_size 0
		.amdhsa_wavefront_size32 1
		.amdhsa_uses_dynamic_stack 0
		.amdhsa_enable_private_segment 0
		.amdhsa_system_sgpr_workgroup_id_x 1
		.amdhsa_system_sgpr_workgroup_id_y 0
		.amdhsa_system_sgpr_workgroup_id_z 0
		.amdhsa_system_sgpr_workgroup_info 0
		.amdhsa_system_vgpr_workitem_id 0
		.amdhsa_next_free_vgpr 18
		.amdhsa_next_free_sgpr 25
		.amdhsa_named_barrier_count 0
		.amdhsa_reserve_vcc 1
		.amdhsa_float_round_mode_32 0
		.amdhsa_float_round_mode_16_64 0
		.amdhsa_float_denorm_mode_32 3
		.amdhsa_float_denorm_mode_16_64 3
		.amdhsa_fp16_overflow 0
		.amdhsa_memory_ordered 1
		.amdhsa_forward_progress 1
		.amdhsa_inst_pref_size 11
		.amdhsa_round_robin_scheduling 0
		.amdhsa_exception_fp_ieee_invalid_op 0
		.amdhsa_exception_fp_denorm_src 0
		.amdhsa_exception_fp_ieee_div_zero 0
		.amdhsa_exception_fp_ieee_overflow 0
		.amdhsa_exception_fp_ieee_underflow 0
		.amdhsa_exception_fp_ieee_inexact 0
		.amdhsa_exception_int_div_zero 0
	.end_amdhsa_kernel
	.section	.text._ZN9rocsparseL27csrsv_analysis_upper_kernelILj1024ELj64ELb0EllEEvT3_PKT2_PKS1_PS2_PiS7_PS1_21rocsparse_index_base_20rocsparse_diag_type_,"axG",@progbits,_ZN9rocsparseL27csrsv_analysis_upper_kernelILj1024ELj64ELb0EllEEvT3_PKT2_PKS1_PS2_PiS7_PS1_21rocsparse_index_base_20rocsparse_diag_type_,comdat
.Lfunc_end16:
	.size	_ZN9rocsparseL27csrsv_analysis_upper_kernelILj1024ELj64ELb0EllEEvT3_PKT2_PKS1_PS2_PiS7_PS1_21rocsparse_index_base_20rocsparse_diag_type_, .Lfunc_end16-_ZN9rocsparseL27csrsv_analysis_upper_kernelILj1024ELj64ELb0EllEEvT3_PKT2_PKS1_PS2_PiS7_PS1_21rocsparse_index_base_20rocsparse_diag_type_
                                        ; -- End function
	.set _ZN9rocsparseL27csrsv_analysis_upper_kernelILj1024ELj64ELb0EllEEvT3_PKT2_PKS1_PS2_PiS7_PS1_21rocsparse_index_base_20rocsparse_diag_type_.num_vgpr, 18
	.set _ZN9rocsparseL27csrsv_analysis_upper_kernelILj1024ELj64ELb0EllEEvT3_PKT2_PKS1_PS2_PiS7_PS1_21rocsparse_index_base_20rocsparse_diag_type_.num_agpr, 0
	.set _ZN9rocsparseL27csrsv_analysis_upper_kernelILj1024ELj64ELb0EllEEvT3_PKT2_PKS1_PS2_PiS7_PS1_21rocsparse_index_base_20rocsparse_diag_type_.numbered_sgpr, 25
	.set _ZN9rocsparseL27csrsv_analysis_upper_kernelILj1024ELj64ELb0EllEEvT3_PKT2_PKS1_PS2_PiS7_PS1_21rocsparse_index_base_20rocsparse_diag_type_.num_named_barrier, 0
	.set _ZN9rocsparseL27csrsv_analysis_upper_kernelILj1024ELj64ELb0EllEEvT3_PKT2_PKS1_PS2_PiS7_PS1_21rocsparse_index_base_20rocsparse_diag_type_.private_seg_size, 0
	.set _ZN9rocsparseL27csrsv_analysis_upper_kernelILj1024ELj64ELb0EllEEvT3_PKT2_PKS1_PS2_PiS7_PS1_21rocsparse_index_base_20rocsparse_diag_type_.uses_vcc, 1
	.set _ZN9rocsparseL27csrsv_analysis_upper_kernelILj1024ELj64ELb0EllEEvT3_PKT2_PKS1_PS2_PiS7_PS1_21rocsparse_index_base_20rocsparse_diag_type_.uses_flat_scratch, 0
	.set _ZN9rocsparseL27csrsv_analysis_upper_kernelILj1024ELj64ELb0EllEEvT3_PKT2_PKS1_PS2_PiS7_PS1_21rocsparse_index_base_20rocsparse_diag_type_.has_dyn_sized_stack, 0
	.set _ZN9rocsparseL27csrsv_analysis_upper_kernelILj1024ELj64ELb0EllEEvT3_PKT2_PKS1_PS2_PiS7_PS1_21rocsparse_index_base_20rocsparse_diag_type_.has_recursion, 0
	.set _ZN9rocsparseL27csrsv_analysis_upper_kernelILj1024ELj64ELb0EllEEvT3_PKT2_PKS1_PS2_PiS7_PS1_21rocsparse_index_base_20rocsparse_diag_type_.has_indirect_call, 0
	.section	.AMDGPU.csdata,"",@progbits
; Kernel info:
; codeLenInByte = 1316
; TotalNumSgprs: 27
; NumVgprs: 18
; ScratchSize: 0
; MemoryBound: 0
; FloatMode: 240
; IeeeMode: 1
; LDSByteSize: 64 bytes/workgroup (compile time only)
; SGPRBlocks: 0
; VGPRBlocks: 1
; NumSGPRsForWavesPerEU: 27
; NumVGPRsForWavesPerEU: 18
; NamedBarCnt: 0
; Occupancy: 16
; WaveLimiterHint : 1
; COMPUTE_PGM_RSRC2:SCRATCH_EN: 0
; COMPUTE_PGM_RSRC2:USER_SGPR: 2
; COMPUTE_PGM_RSRC2:TRAP_HANDLER: 0
; COMPUTE_PGM_RSRC2:TGID_X_EN: 1
; COMPUTE_PGM_RSRC2:TGID_Y_EN: 0
; COMPUTE_PGM_RSRC2:TGID_Z_EN: 0
; COMPUTE_PGM_RSRC2:TIDIG_COMP_CNT: 0
	.section	.text._ZN9rocsparseL27csrsv_analysis_lower_kernelILj1024ELj64ELb0EllEEvT3_PKT2_PKS1_PS2_PiS7_PS1_21rocsparse_index_base_20rocsparse_diag_type_,"axG",@progbits,_ZN9rocsparseL27csrsv_analysis_lower_kernelILj1024ELj64ELb0EllEEvT3_PKT2_PKS1_PS2_PiS7_PS1_21rocsparse_index_base_20rocsparse_diag_type_,comdat
	.globl	_ZN9rocsparseL27csrsv_analysis_lower_kernelILj1024ELj64ELb0EllEEvT3_PKT2_PKS1_PS2_PiS7_PS1_21rocsparse_index_base_20rocsparse_diag_type_ ; -- Begin function _ZN9rocsparseL27csrsv_analysis_lower_kernelILj1024ELj64ELb0EllEEvT3_PKT2_PKS1_PS2_PiS7_PS1_21rocsparse_index_base_20rocsparse_diag_type_
	.p2align	8
	.type	_ZN9rocsparseL27csrsv_analysis_lower_kernelILj1024ELj64ELb0EllEEvT3_PKT2_PKS1_PS2_PiS7_PS1_21rocsparse_index_base_20rocsparse_diag_type_,@function
_ZN9rocsparseL27csrsv_analysis_lower_kernelILj1024ELj64ELb0EllEEvT3_PKT2_PKS1_PS2_PiS7_PS1_21rocsparse_index_base_20rocsparse_diag_type_: ; @_ZN9rocsparseL27csrsv_analysis_lower_kernelILj1024ELj64ELb0EllEEvT3_PKT2_PKS1_PS2_PiS7_PS1_21rocsparse_index_base_20rocsparse_diag_type_
; %bb.0:
	s_load_b64 s[2:3], s[0:1], 0x0
	s_bfe_u32 s4, ttmp6, 0x4000c
	s_and_b32 s5, ttmp6, 15
	s_add_co_i32 s4, s4, 1
	s_getreg_b32 s6, hwreg(HW_REG_IB_STS2, 6, 4)
	s_mul_i32 s4, ttmp9, s4
	v_dual_lshrrev_b32 v1, 6, v0 :: v_dual_mov_b32 v3, 0
	s_add_co_i32 s5, s5, s4
	s_cmp_eq_u32 s6, 0
	s_cselect_b32 s4, ttmp9, s5
	s_delay_alu instid0(VALU_DEP_1) | instskip(SKIP_1) | instid1(SALU_CYCLE_1)
	v_lshlrev_b32_e32 v16, 2, v1
	s_lshl_b32 s12, s4, 4
	v_or_b32_e32 v2, s12, v1
	ds_store_b32 v16, v3
	s_wait_dscnt 0x0
	s_barrier_signal -1
	s_wait_kmcnt 0x0
	v_cmp_gt_i64_e32 vcc_lo, s[2:3], v[2:3]
	s_barrier_wait -1
	s_and_saveexec_b32 s2, vcc_lo
	s_cbranch_execz .LBB17_32
; %bb.1:
	s_clause 0x1
	s_load_b64 s[4:5], s[0:1], 0x18
	s_load_b64 s[2:3], s[0:1], 0x8
	v_and_b32_e32 v4, 63, v0
	s_wait_kmcnt 0x0
	v_lshl_add_u64 v[0:1], v[2:3], 3, s[4:5]
	s_mov_b32 s4, exec_lo
	s_delay_alu instid0(VALU_DEP_2)
	v_cmpx_eq_u32_e32 0, v4
	s_cbranch_execz .LBB17_3
; %bb.2:
	v_mov_b64_e32 v[6:7], -1
	global_store_b64 v[0:1], v[6:7], off
.LBB17_3:
	s_wait_xcnt 0x0
	s_or_b32 exec_lo, exec_lo, s4
	v_lshl_add_u64 v[6:7], v[2:3], 3, s[2:3]
	s_load_b256 s[4:11], s[0:1], 0x20
	s_mov_b32 s3, 0
	v_mov_b32_e32 v5, 0
	global_load_b128 v[6:9], v[6:7], off
	s_wait_kmcnt 0x0
	s_mov_b32 s2, s10
	s_mov_b32 s10, exec_lo
	s_wait_loadcnt 0x0
	v_sub_nc_u64_e64 v[6:7], v[6:7], s[2:3]
	v_sub_nc_u64_e64 v[8:9], v[8:9], s[2:3]
	s_delay_alu instid0(VALU_DEP_2) | instskip(NEXT) | instid1(VALU_DEP_1)
	v_add_nc_u64_e32 v[14:15], v[6:7], v[4:5]
	v_cmpx_lt_i64_e64 v[14:15], v[8:9]
	s_cbranch_execz .LBB17_22
; %bb.4:
	s_load_b64 s[0:1], s[0:1], 0x10
	v_mov_b32_e32 v5, 0
	s_mov_b32 s13, s3
	s_mov_b32 s15, s3
                                        ; implicit-def: $sgpr14
                                        ; implicit-def: $sgpr17
                                        ; implicit-def: $sgpr16
	s_branch .LBB17_7
.LBB17_5:                               ;   in Loop: Header=BB17_7 Depth=1
	s_or_b32 exec_lo, exec_lo, s19
	v_add_nc_u64_e32 v[14:15], 64, v[12:13]
	v_max_i32_e32 v5, v5, v17
	s_and_not1_b32 s17, s17, exec_lo
	s_and_not1_b32 s16, s16, exec_lo
	s_delay_alu instid0(VALU_DEP_2) | instskip(SKIP_1) | instid1(SALU_CYCLE_1)
	v_cmp_ge_i64_e32 vcc_lo, v[14:15], v[8:9]
	s_and_b32 s19, vcc_lo, exec_lo
	s_or_b32 s17, s17, s19
.LBB17_6:                               ;   in Loop: Header=BB17_7 Depth=1
	s_or_b32 exec_lo, exec_lo, s18
	s_delay_alu instid0(SALU_CYCLE_1) | instskip(NEXT) | instid1(SALU_CYCLE_1)
	s_and_b32 s18, exec_lo, s17
	s_or_b32 s15, s18, s15
	s_and_not1_b32 s14, s14, exec_lo
	s_and_b32 s18, s16, exec_lo
	s_delay_alu instid0(SALU_CYCLE_1)
	s_or_b32 s14, s14, s18
	s_and_not1_b32 exec_lo, exec_lo, s15
	s_cbranch_execz .LBB17_12
.LBB17_7:                               ; =>This Loop Header: Depth=1
                                        ;     Child Loop BB17_10 Depth 2
	v_mov_b64_e32 v[12:13], v[14:15]
	v_mov_b32_e32 v17, v5
	s_or_b32 s16, s16, exec_lo
	s_or_b32 s17, s17, exec_lo
	s_mov_b32 s18, exec_lo
                                        ; implicit-def: $vgpr14_vgpr15
	s_wait_kmcnt 0x0
	s_delay_alu instid0(VALU_DEP_2) | instskip(SKIP_3) | instid1(VALU_DEP_1)
	v_lshl_add_u64 v[10:11], v[12:13], 3, s[0:1]
	global_load_b64 v[10:11], v[10:11], off th:TH_LOAD_NT
	s_wait_loadcnt 0x0
	v_sub_nc_u64_e64 v[10:11], v[10:11], s[2:3]
	v_cmpx_gt_i64_e64 s[12:13], v[10:11]
	s_cbranch_execz .LBB17_6
; %bb.8:                                ;   in Loop: Header=BB17_7 Depth=1
	v_lshl_add_u64 v[14:15], v[10:11], 2, s[4:5]
	s_mov_b32 s19, exec_lo
	global_load_b32 v5, v[14:15], off scope:SCOPE_DEV
	s_wait_loadcnt 0x0
	v_cmpx_eq_u32_e32 0, v5
	s_cbranch_execz .LBB17_5
; %bb.9:                                ;   in Loop: Header=BB17_7 Depth=1
	s_mov_b32 s20, 0
.LBB17_10:                              ;   Parent Loop BB17_7 Depth=1
                                        ; =>  This Inner Loop Header: Depth=2
	global_load_b32 v5, v[14:15], off scope:SCOPE_DEV
	s_wait_loadcnt 0x0
	v_cmp_ne_u32_e32 vcc_lo, 0, v5
	s_or_b32 s20, vcc_lo, s20
	s_wait_xcnt 0x0
	s_and_not1_b32 exec_lo, exec_lo, s20
	s_cbranch_execnz .LBB17_10
; %bb.11:                               ;   in Loop: Header=BB17_7 Depth=1
	s_or_b32 exec_lo, exec_lo, s20
	s_branch .LBB17_5
.LBB17_12:
	s_or_b32 exec_lo, exec_lo, s15
	s_and_saveexec_b32 s0, s14
	s_delay_alu instid0(SALU_CYCLE_1)
	s_xor_b32 s0, exec_lo, s0
	s_cbranch_execz .LBB17_21
; %bb.13:
	s_mov_b32 s1, exec_lo
	v_cmpx_eq_u64_e64 v[10:11], v[2:3]
	s_cbranch_execz .LBB17_15
; %bb.14:
	global_store_b64 v[0:1], v[12:13], off
.LBB17_15:
	s_wait_xcnt 0x0
	s_or_b32 exec_lo, exec_lo, s1
	s_delay_alu instid0(SALU_CYCLE_1)
	s_mov_b32 s1, exec_lo
	v_cmpx_lt_i64_e64 v[10:11], v[2:3]
	s_cbranch_execz .LBB17_20
; %bb.16:
	v_subrev_nc_u32_e32 v5, s12, v10
	s_mov_b32 s13, 0
	s_mov_b32 s12, exec_lo
	s_delay_alu instid0(VALU_DEP_1)
	v_lshlrev_b32_e32 v10, 2, v5
	ds_load_b32 v5, v10
	s_wait_dscnt 0x0
	v_cmpx_eq_u32_e32 0, v5
	s_cbranch_execz .LBB17_19
.LBB17_17:                              ; =>This Inner Loop Header: Depth=1
	ds_load_b32 v5, v10
	s_wait_dscnt 0x0
	v_cmp_ne_u32_e32 vcc_lo, 0, v5
	s_or_b32 s13, vcc_lo, s13
	s_delay_alu instid0(SALU_CYCLE_1)
	s_and_not1_b32 exec_lo, exec_lo, s13
	s_cbranch_execnz .LBB17_17
; %bb.18:
	s_or_b32 exec_lo, exec_lo, s13
.LBB17_19:
	s_delay_alu instid0(SALU_CYCLE_1)
	s_or_b32 exec_lo, exec_lo, s12
	v_max_i32_e32 v17, v5, v17
.LBB17_20:
	s_or_b32 exec_lo, exec_lo, s1
	s_delay_alu instid0(VALU_DEP_1)
	v_mov_b32_e32 v5, v17
.LBB17_21:
	s_or_b32 exec_lo, exec_lo, s0
.LBB17_22:
	s_delay_alu instid0(SALU_CYCLE_1) | instskip(SKIP_2) | instid1(VALU_DEP_1)
	s_or_b32 exec_lo, exec_lo, s10
	v_mbcnt_lo_u32_b32 v10, -1, 0
	s_wait_storecnt 0x0
	v_xor_b32_e32 v12, 16, v10
	v_or_b32_e32 v11, 32, v10
	s_delay_alu instid0(VALU_DEP_1) | instskip(SKIP_1) | instid1(VALU_DEP_4)
	v_cmp_gt_i32_e32 vcc_lo, 32, v11
	v_cndmask_b32_e32 v11, v10, v11, vcc_lo
	v_cmp_gt_i32_e32 vcc_lo, 32, v12
	v_cndmask_b32_e32 v12, v10, v12, vcc_lo
	s_delay_alu instid0(VALU_DEP_1)
	v_dual_lshlrev_b32 v12, 2, v12 :: v_dual_lshlrev_b32 v11, 2, v11
	ds_bpermute_b32 v11, v11, v5
	s_wait_dscnt 0x0
	v_max_i32_e32 v5, v5, v11
	ds_bpermute_b32 v11, v12, v5
	v_xor_b32_e32 v12, 8, v10
	s_delay_alu instid0(VALU_DEP_1) | instskip(SKIP_2) | instid1(VALU_DEP_1)
	v_cmp_gt_i32_e32 vcc_lo, 32, v12
	v_cndmask_b32_e32 v12, v10, v12, vcc_lo
	s_wait_dscnt 0x0
	v_dual_lshlrev_b32 v12, 2, v12 :: v_dual_max_i32 v5, v5, v11
	ds_bpermute_b32 v11, v12, v5
	v_xor_b32_e32 v12, 4, v10
	s_delay_alu instid0(VALU_DEP_1) | instskip(SKIP_2) | instid1(VALU_DEP_1)
	v_cmp_gt_i32_e32 vcc_lo, 32, v12
	s_wait_dscnt 0x0
	v_dual_cndmask_b32 v12, v10, v12 :: v_dual_max_i32 v5, v5, v11
	v_lshlrev_b32_e32 v12, 2, v12
	ds_bpermute_b32 v11, v12, v5
	v_xor_b32_e32 v12, 2, v10
	s_delay_alu instid0(VALU_DEP_1) | instskip(SKIP_2) | instid1(VALU_DEP_1)
	v_cmp_gt_i32_e32 vcc_lo, 32, v12
	s_wait_dscnt 0x0
	v_dual_cndmask_b32 v12, v10, v12 :: v_dual_max_i32 v5, v5, v11
	v_lshlrev_b32_e32 v12, 2, v12
	ds_bpermute_b32 v11, v12, v5
	v_xor_b32_e32 v12, 1, v10
	s_delay_alu instid0(VALU_DEP_1) | instskip(SKIP_3) | instid1(VALU_DEP_2)
	v_cmp_gt_i32_e32 vcc_lo, 32, v12
	v_cndmask_b32_e32 v10, v10, v12, vcc_lo
	v_cmp_eq_u32_e32 vcc_lo, 63, v4
	s_wait_dscnt 0x0
	v_dual_lshlrev_b32 v10, 2, v10 :: v_dual_max_i32 v5, v5, v11
	ds_bpermute_b32 v10, v10, v5
	s_and_b32 exec_lo, exec_lo, vcc_lo
	s_cbranch_execz .LBB17_32
; %bb.23:
	s_wait_dscnt 0x0
	v_max_i32_e32 v10, v5, v10
	v_sub_nc_u64_e32 v[6:7], v[8:9], v[6:7]
	v_mov_b64_e32 v[4:5], 0
	v_lshl_add_u64 v[8:9], v[2:3], 2, s[4:5]
	s_mov_b32 s0, exec_lo
	v_add_nc_u32_e32 v10, 1, v10
	ds_store_b32 v16, v10
	global_store_b32 v[8:9], v10, off scope:SCOPE_DEV
.LBB17_24:                              ; =>This Inner Loop Header: Depth=1
	s_ctz_i32_b32 s1, s0
	s_delay_alu instid0(SALU_CYCLE_1) | instskip(SKIP_2) | instid1(SALU_CYCLE_1)
	v_readlane_b32 s5, v7, s1
	v_readlane_b32 s4, v6, s1
	s_lshl_b32 s1, 1, s1
	s_and_not1_b32 s0, s0, s1
	v_max_u64 v[4:5], v[4:5], s[4:5]
	s_cmp_lg_u32 s0, 0
	s_cbranch_scc1 .LBB17_24
; %bb.25:
	v_mbcnt_lo_u32_b32 v6, exec_lo, 0
	s_mov_b32 s0, exec_lo
	s_wait_xcnt 0x0
	s_delay_alu instid0(VALU_DEP_1)
	v_cmpx_eq_u32_e32 0, v6
	s_xor_b32 s0, exec_lo, s0
	s_cbranch_execz .LBB17_27
; %bb.26:
	v_mov_b32_e32 v6, 0
	global_atomic_max_u64 v6, v[4:5], s[6:7] scope:SCOPE_DEV
.LBB17_27:
	s_wait_xcnt 0x0
	s_or_b32 exec_lo, exec_lo, s0
	global_load_b64 v[0:1], v[0:1], off
	s_cmp_eq_u32 s11, 0
	s_cselect_b32 s0, -1, 0
	s_wait_loadcnt 0x0
	v_cmp_eq_u64_e32 vcc_lo, -1, v[0:1]
	s_and_b32 s0, s0, vcc_lo
	s_wait_xcnt 0x0
	s_and_b32 exec_lo, exec_lo, s0
	s_cbranch_execz .LBB17_32
; %bb.28:
	v_add_nc_u64_e32 v[2:3], s[2:3], v[2:3]
	v_mov_b64_e32 v[0:1], -1
	s_mov_b32 s0, exec_lo
.LBB17_29:                              ; =>This Inner Loop Header: Depth=1
	s_delay_alu instid0(SALU_CYCLE_1)
	s_ctz_i32_b32 s1, s0
	s_delay_alu instid0(VALU_DEP_2) | instid1(SALU_CYCLE_1)
	v_readlane_b32 s3, v3, s1
	s_delay_alu instid0(VALU_DEP_3) | instskip(SKIP_1) | instid1(SALU_CYCLE_1)
	v_readlane_b32 s2, v2, s1
	s_lshl_b32 s1, 1, s1
	s_and_not1_b32 s0, s0, s1
	v_min_u64 v[0:1], v[0:1], s[2:3]
	s_cmp_lg_u32 s0, 0
	s_cbranch_scc1 .LBB17_29
; %bb.30:
	v_mbcnt_lo_u32_b32 v2, exec_lo, 0
	s_mov_b32 s0, exec_lo
	s_delay_alu instid0(VALU_DEP_1)
	v_cmpx_eq_u32_e32 0, v2
	s_xor_b32 s0, exec_lo, s0
	s_cbranch_execz .LBB17_32
; %bb.31:
	v_mov_b32_e32 v2, 0
	global_atomic_min_u64 v2, v[0:1], s[8:9] scope:SCOPE_DEV
.LBB17_32:
	s_endpgm
	.section	.rodata,"a",@progbits
	.p2align	6, 0x0
	.amdhsa_kernel _ZN9rocsparseL27csrsv_analysis_lower_kernelILj1024ELj64ELb0EllEEvT3_PKT2_PKS1_PS2_PiS7_PS1_21rocsparse_index_base_20rocsparse_diag_type_
		.amdhsa_group_segment_fixed_size 64
		.amdhsa_private_segment_fixed_size 0
		.amdhsa_kernarg_size 64
		.amdhsa_user_sgpr_count 2
		.amdhsa_user_sgpr_dispatch_ptr 0
		.amdhsa_user_sgpr_queue_ptr 0
		.amdhsa_user_sgpr_kernarg_segment_ptr 1
		.amdhsa_user_sgpr_dispatch_id 0
		.amdhsa_user_sgpr_kernarg_preload_length 0
		.amdhsa_user_sgpr_kernarg_preload_offset 0
		.amdhsa_user_sgpr_private_segment_size 0
		.amdhsa_wavefront_size32 1
		.amdhsa_uses_dynamic_stack 0
		.amdhsa_enable_private_segment 0
		.amdhsa_system_sgpr_workgroup_id_x 1
		.amdhsa_system_sgpr_workgroup_id_y 0
		.amdhsa_system_sgpr_workgroup_id_z 0
		.amdhsa_system_sgpr_workgroup_info 0
		.amdhsa_system_vgpr_workitem_id 0
		.amdhsa_next_free_vgpr 18
		.amdhsa_next_free_sgpr 21
		.amdhsa_named_barrier_count 0
		.amdhsa_reserve_vcc 1
		.amdhsa_float_round_mode_32 0
		.amdhsa_float_round_mode_16_64 0
		.amdhsa_float_denorm_mode_32 3
		.amdhsa_float_denorm_mode_16_64 3
		.amdhsa_fp16_overflow 0
		.amdhsa_memory_ordered 1
		.amdhsa_forward_progress 1
		.amdhsa_inst_pref_size 10
		.amdhsa_round_robin_scheduling 0
		.amdhsa_exception_fp_ieee_invalid_op 0
		.amdhsa_exception_fp_denorm_src 0
		.amdhsa_exception_fp_ieee_div_zero 0
		.amdhsa_exception_fp_ieee_overflow 0
		.amdhsa_exception_fp_ieee_underflow 0
		.amdhsa_exception_fp_ieee_inexact 0
		.amdhsa_exception_int_div_zero 0
	.end_amdhsa_kernel
	.section	.text._ZN9rocsparseL27csrsv_analysis_lower_kernelILj1024ELj64ELb0EllEEvT3_PKT2_PKS1_PS2_PiS7_PS1_21rocsparse_index_base_20rocsparse_diag_type_,"axG",@progbits,_ZN9rocsparseL27csrsv_analysis_lower_kernelILj1024ELj64ELb0EllEEvT3_PKT2_PKS1_PS2_PiS7_PS1_21rocsparse_index_base_20rocsparse_diag_type_,comdat
.Lfunc_end17:
	.size	_ZN9rocsparseL27csrsv_analysis_lower_kernelILj1024ELj64ELb0EllEEvT3_PKT2_PKS1_PS2_PiS7_PS1_21rocsparse_index_base_20rocsparse_diag_type_, .Lfunc_end17-_ZN9rocsparseL27csrsv_analysis_lower_kernelILj1024ELj64ELb0EllEEvT3_PKT2_PKS1_PS2_PiS7_PS1_21rocsparse_index_base_20rocsparse_diag_type_
                                        ; -- End function
	.set _ZN9rocsparseL27csrsv_analysis_lower_kernelILj1024ELj64ELb0EllEEvT3_PKT2_PKS1_PS2_PiS7_PS1_21rocsparse_index_base_20rocsparse_diag_type_.num_vgpr, 18
	.set _ZN9rocsparseL27csrsv_analysis_lower_kernelILj1024ELj64ELb0EllEEvT3_PKT2_PKS1_PS2_PiS7_PS1_21rocsparse_index_base_20rocsparse_diag_type_.num_agpr, 0
	.set _ZN9rocsparseL27csrsv_analysis_lower_kernelILj1024ELj64ELb0EllEEvT3_PKT2_PKS1_PS2_PiS7_PS1_21rocsparse_index_base_20rocsparse_diag_type_.numbered_sgpr, 21
	.set _ZN9rocsparseL27csrsv_analysis_lower_kernelILj1024ELj64ELb0EllEEvT3_PKT2_PKS1_PS2_PiS7_PS1_21rocsparse_index_base_20rocsparse_diag_type_.num_named_barrier, 0
	.set _ZN9rocsparseL27csrsv_analysis_lower_kernelILj1024ELj64ELb0EllEEvT3_PKT2_PKS1_PS2_PiS7_PS1_21rocsparse_index_base_20rocsparse_diag_type_.private_seg_size, 0
	.set _ZN9rocsparseL27csrsv_analysis_lower_kernelILj1024ELj64ELb0EllEEvT3_PKT2_PKS1_PS2_PiS7_PS1_21rocsparse_index_base_20rocsparse_diag_type_.uses_vcc, 1
	.set _ZN9rocsparseL27csrsv_analysis_lower_kernelILj1024ELj64ELb0EllEEvT3_PKT2_PKS1_PS2_PiS7_PS1_21rocsparse_index_base_20rocsparse_diag_type_.uses_flat_scratch, 0
	.set _ZN9rocsparseL27csrsv_analysis_lower_kernelILj1024ELj64ELb0EllEEvT3_PKT2_PKS1_PS2_PiS7_PS1_21rocsparse_index_base_20rocsparse_diag_type_.has_dyn_sized_stack, 0
	.set _ZN9rocsparseL27csrsv_analysis_lower_kernelILj1024ELj64ELb0EllEEvT3_PKT2_PKS1_PS2_PiS7_PS1_21rocsparse_index_base_20rocsparse_diag_type_.has_recursion, 0
	.set _ZN9rocsparseL27csrsv_analysis_lower_kernelILj1024ELj64ELb0EllEEvT3_PKT2_PKS1_PS2_PiS7_PS1_21rocsparse_index_base_20rocsparse_diag_type_.has_indirect_call, 0
	.section	.AMDGPU.csdata,"",@progbits
; Kernel info:
; codeLenInByte = 1276
; TotalNumSgprs: 23
; NumVgprs: 18
; ScratchSize: 0
; MemoryBound: 0
; FloatMode: 240
; IeeeMode: 1
; LDSByteSize: 64 bytes/workgroup (compile time only)
; SGPRBlocks: 0
; VGPRBlocks: 1
; NumSGPRsForWavesPerEU: 23
; NumVGPRsForWavesPerEU: 18
; NamedBarCnt: 0
; Occupancy: 16
; WaveLimiterHint : 1
; COMPUTE_PGM_RSRC2:SCRATCH_EN: 0
; COMPUTE_PGM_RSRC2:USER_SGPR: 2
; COMPUTE_PGM_RSRC2:TRAP_HANDLER: 0
; COMPUTE_PGM_RSRC2:TGID_X_EN: 1
; COMPUTE_PGM_RSRC2:TGID_Y_EN: 0
; COMPUTE_PGM_RSRC2:TGID_Z_EN: 0
; COMPUTE_PGM_RSRC2:TIDIG_COMP_CNT: 0
	.section	.text._ZN9rocsparseL27csrsv_analysis_upper_kernelILj1024ELj64ELb1EilEEvT3_PKT2_PKS1_PS2_PiS7_PS1_21rocsparse_index_base_20rocsparse_diag_type_,"axG",@progbits,_ZN9rocsparseL27csrsv_analysis_upper_kernelILj1024ELj64ELb1EilEEvT3_PKT2_PKS1_PS2_PiS7_PS1_21rocsparse_index_base_20rocsparse_diag_type_,comdat
	.globl	_ZN9rocsparseL27csrsv_analysis_upper_kernelILj1024ELj64ELb1EilEEvT3_PKT2_PKS1_PS2_PiS7_PS1_21rocsparse_index_base_20rocsparse_diag_type_ ; -- Begin function _ZN9rocsparseL27csrsv_analysis_upper_kernelILj1024ELj64ELb1EilEEvT3_PKT2_PKS1_PS2_PiS7_PS1_21rocsparse_index_base_20rocsparse_diag_type_
	.p2align	8
	.type	_ZN9rocsparseL27csrsv_analysis_upper_kernelILj1024ELj64ELb1EilEEvT3_PKT2_PKS1_PS2_PiS7_PS1_21rocsparse_index_base_20rocsparse_diag_type_,@function
_ZN9rocsparseL27csrsv_analysis_upper_kernelILj1024ELj64ELb1EilEEvT3_PKT2_PKS1_PS2_PiS7_PS1_21rocsparse_index_base_20rocsparse_diag_type_: ; @_ZN9rocsparseL27csrsv_analysis_upper_kernelILj1024ELj64ELb1EilEEvT3_PKT2_PKS1_PS2_PiS7_PS1_21rocsparse_index_base_20rocsparse_diag_type_
; %bb.0:
	s_load_b64 s[2:3], s[0:1], 0x0
	s_bfe_u32 s4, ttmp6, 0x4000c
	s_and_b32 s5, ttmp6, 15
	s_add_co_i32 s4, s4, 1
	s_getreg_b32 s6, hwreg(HW_REG_IB_STS2, 6, 4)
	s_mul_i32 s4, ttmp9, s4
	s_mov_b32 s13, 0
	s_add_co_i32 s5, s5, s4
	s_cmp_eq_u32 s6, 0
	v_dual_mov_b32 v5, 0 :: v_dual_lshrrev_b32 v4, 6, v0
	s_cselect_b32 s4, ttmp9, s5
	s_delay_alu instid0(SALU_CYCLE_1) | instskip(NEXT) | instid1(VALU_DEP_1)
	s_lshl_b32 s12, s4, 4
	v_lshlrev_b32_e32 v8, 2, v4
	s_not_b64 s[4:5], s[12:13]
	ds_store_b32 v8, v5
	s_wait_kmcnt 0x0
	s_add_nc_u64 s[14:15], s[2:3], s[4:5]
	s_wait_dscnt 0x0
	v_sub_nc_u64_e32 v[2:3], s[14:15], v[4:5]
	s_barrier_signal -1
	s_barrier_wait -1
	s_mov_b32 s3, exec_lo
	s_delay_alu instid0(VALU_DEP_1)
	v_cmpx_lt_i64_e32 -1, v[2:3]
	s_cbranch_execz .LBB18_37
; %bb.1:
	s_clause 0x1
	s_load_b64 s[6:7], s[0:1], 0x18
	s_load_b64 s[4:5], s[0:1], 0x8
	v_and_b32_e32 v9, 63, v0
	s_mov_b32 s3, exec_lo
	s_wait_kmcnt 0x0
	v_lshl_add_u64 v[0:1], v[2:3], 2, s[6:7]
	s_delay_alu instid0(VALU_DEP_2)
	v_cmpx_eq_u32_e32 0, v9
	s_cbranch_execz .LBB18_3
; %bb.2:
	v_mov_b32_e32 v4, -1
	global_store_b32 v[0:1], v4, off
.LBB18_3:
	s_wait_xcnt 0x0
	s_or_b32 exec_lo, exec_lo, s3
	v_lshl_add_u64 v[4:5], v[2:3], 2, s[4:5]
	s_load_b256 s[4:11], s[0:1], 0x20
	v_mov_b32_e32 v6, 0
	s_mov_b32 s3, exec_lo
	global_load_b64 v[4:5], v[4:5], off
	s_wait_loadcnt 0x0
	s_wait_kmcnt 0x0
	v_subrev_nc_u32_e32 v10, s10, v5
	v_subrev_nc_u32_e32 v11, s10, v4
	s_delay_alu instid0(VALU_DEP_2) | instskip(SKIP_1) | instid1(VALU_DEP_1)
	v_xad_u32 v7, v9, -1, v10
	s_wait_xcnt 0x0
	v_cmpx_ge_i32_e64 v7, v11
	s_cbranch_execz .LBB18_27
; %bb.4:
	s_load_b64 s[0:1], s[0:1], 0x10
	v_mov_b32_e32 v6, 0
	s_mov_b32 s17, 0
	s_mov_b32 s16, s10
	;; [unrolled: 1-line block ×3, first 2 shown]
                                        ; implicit-def: $sgpr13
                                        ; implicit-def: $sgpr20
                                        ; implicit-def: $sgpr19
	s_branch .LBB18_8
.LBB18_5:                               ;   in Loop: Header=BB18_8 Depth=1
	s_or_b32 exec_lo, exec_lo, s23
.LBB18_6:                               ;   in Loop: Header=BB18_8 Depth=1
	s_delay_alu instid0(SALU_CYCLE_1) | instskip(SKIP_4) | instid1(VALU_DEP_2)
	s_or_b32 exec_lo, exec_lo, s22
	v_subrev_nc_u32_e32 v7, 64, v13
	v_max_i32_e32 v6, v14, v12
	s_and_not1_b32 s20, s20, exec_lo
	s_and_not1_b32 s19, s19, exec_lo
	v_cmp_lt_i32_e32 vcc_lo, v7, v11
	s_and_b32 s22, vcc_lo, exec_lo
	s_delay_alu instid0(SALU_CYCLE_1)
	s_or_b32 s20, s20, s22
.LBB18_7:                               ;   in Loop: Header=BB18_8 Depth=1
	s_or_b32 exec_lo, exec_lo, s21
	s_delay_alu instid0(SALU_CYCLE_1) | instskip(NEXT) | instid1(SALU_CYCLE_1)
	s_and_b32 s21, exec_lo, s20
	s_or_b32 s18, s21, s18
	s_and_not1_b32 s13, s13, exec_lo
	s_and_b32 s21, s19, exec_lo
	s_delay_alu instid0(SALU_CYCLE_1)
	s_or_b32 s13, s13, s21
	s_and_not1_b32 exec_lo, exec_lo, s18
	s_cbranch_execz .LBB18_14
.LBB18_8:                               ; =>This Loop Header: Depth=1
                                        ;     Child Loop BB18_12 Depth 2
                                        ;       Child Loop BB18_13 Depth 3
	s_wait_kmcnt 0x0
	global_load_b64 v[4:5], v7, s[0:1] scale_offset th:TH_LOAD_NT
	v_dual_mov_b32 v13, v7 :: v_dual_mov_b32 v12, v6
	s_or_b32 s19, s19, exec_lo
	s_or_b32 s20, s20, exec_lo
	s_mov_b32 s21, exec_lo
                                        ; implicit-def: $vgpr7
                                        ; implicit-def: $vgpr6
	s_wait_loadcnt 0x0
	v_sub_nc_u64_e64 v[4:5], v[4:5], s[16:17]
	s_wait_xcnt 0x0
	s_delay_alu instid0(VALU_DEP_1)
	v_cmpx_lt_i64_e64 s[14:15], v[4:5]
	s_cbranch_execz .LBB18_7
; %bb.9:                                ;   in Loop: Header=BB18_8 Depth=1
	v_lshl_add_u64 v[6:7], v[4:5], 2, s[4:5]
	s_mov_b32 s22, exec_lo
	global_load_b32 v14, v[6:7], off scope:SCOPE_DEV
	s_wait_loadcnt 0x0
	v_cmpx_eq_u32_e32 0, v14
	s_cbranch_execz .LBB18_6
; %bb.10:                               ;   in Loop: Header=BB18_8 Depth=1
	s_mov_b32 s23, 0
	s_mov_b32 s24, 0
	s_branch .LBB18_12
.LBB18_11:                              ;   in Loop: Header=BB18_12 Depth=2
	global_load_b32 v14, v[6:7], off scope:SCOPE_DEV
	s_cmp_lt_u32 s24, 0xf43
	s_cselect_b32 s25, -1, 0
	s_delay_alu instid0(SALU_CYCLE_1)
	s_cmp_lg_u32 s25, 0
	s_add_co_ci_u32 s24, s24, 0
	s_wait_loadcnt 0x0
	v_cmp_ne_u32_e32 vcc_lo, 0, v14
	s_or_b32 s23, vcc_lo, s23
	s_wait_xcnt 0x0
	s_and_not1_b32 exec_lo, exec_lo, s23
	s_cbranch_execz .LBB18_5
.LBB18_12:                              ;   Parent Loop BB18_8 Depth=1
                                        ; =>  This Loop Header: Depth=2
                                        ;       Child Loop BB18_13 Depth 3
	s_cmp_eq_u32 s24, 0
	s_mov_b32 s25, s24
	s_cbranch_scc1 .LBB18_11
.LBB18_13:                              ;   Parent Loop BB18_8 Depth=1
                                        ;     Parent Loop BB18_12 Depth=2
                                        ; =>    This Inner Loop Header: Depth=3
	s_add_co_i32 s25, s25, -1
	s_sleep 1
	s_cmp_eq_u32 s25, 0
	s_cbranch_scc0 .LBB18_13
	s_branch .LBB18_11
.LBB18_14:
	s_or_b32 exec_lo, exec_lo, s18
	s_and_saveexec_b32 s0, s13
	s_delay_alu instid0(SALU_CYCLE_1)
	s_xor_b32 s0, exec_lo, s0
	s_cbranch_execz .LBB18_26
; %bb.15:
	s_mov_b32 s1, exec_lo
	v_cmpx_eq_u64_e64 v[4:5], v[2:3]
	s_cbranch_execz .LBB18_17
; %bb.16:
	global_store_b32 v[0:1], v13, off
.LBB18_17:
	s_wait_xcnt 0x0
	s_or_b32 exec_lo, exec_lo, s1
	s_delay_alu instid0(SALU_CYCLE_1)
	s_mov_b32 s1, exec_lo
	v_cmpx_gt_i64_e64 v[4:5], v[2:3]
	s_cbranch_execz .LBB18_25
; %bb.18:
	s_xor_b32 s12, s12, 0x3ffffff0
	s_delay_alu instid0(SALU_CYCLE_1) | instskip(SKIP_3) | instid1(VALU_DEP_1)
	s_add_co_i32 s2, s2, s12
	s_mov_b32 s12, 0
	v_sub_nc_u32_e32 v4, s2, v4
	s_mov_b32 s2, exec_lo
	v_lshlrev_b32_e32 v4, 2, v4
	ds_load_b32 v5, v4 offset:60
	s_wait_dscnt 0x0
	v_cmpx_eq_u32_e32 0, v5
	s_cbranch_execz .LBB18_24
; %bb.19:
	s_mov_b32 s13, 0
	s_branch .LBB18_21
.LBB18_20:                              ;   in Loop: Header=BB18_21 Depth=1
	ds_load_b32 v5, v4 offset:60
	s_cmp_lt_u32 s13, 0xf43
	s_cselect_b32 s14, -1, 0
	s_delay_alu instid0(SALU_CYCLE_1) | instskip(SKIP_4) | instid1(SALU_CYCLE_1)
	s_cmp_lg_u32 s14, 0
	s_add_co_ci_u32 s13, s13, 0
	s_wait_dscnt 0x0
	v_cmp_ne_u32_e32 vcc_lo, 0, v5
	s_or_b32 s12, vcc_lo, s12
	s_and_not1_b32 exec_lo, exec_lo, s12
	s_cbranch_execz .LBB18_23
.LBB18_21:                              ; =>This Loop Header: Depth=1
                                        ;     Child Loop BB18_22 Depth 2
	s_cmp_eq_u32 s13, 0
	s_mov_b32 s14, s13
	s_cbranch_scc1 .LBB18_20
.LBB18_22:                              ;   Parent Loop BB18_21 Depth=1
                                        ; =>  This Inner Loop Header: Depth=2
	s_add_co_i32 s14, s14, -1
	s_sleep 1
	s_cmp_eq_u32 s14, 0
	s_cbranch_scc0 .LBB18_22
	s_branch .LBB18_20
.LBB18_23:
	s_or_b32 exec_lo, exec_lo, s12
.LBB18_24:
	s_delay_alu instid0(SALU_CYCLE_1)
	s_or_b32 exec_lo, exec_lo, s2
	v_max_i32_e32 v12, v5, v12
.LBB18_25:
	s_or_b32 exec_lo, exec_lo, s1
	s_delay_alu instid0(VALU_DEP_1)
	v_mov_b32_e32 v6, v12
.LBB18_26:
	s_or_b32 exec_lo, exec_lo, s0
.LBB18_27:
	s_delay_alu instid0(SALU_CYCLE_1) | instskip(SKIP_2) | instid1(VALU_DEP_1)
	s_or_b32 exec_lo, exec_lo, s3
	v_mbcnt_lo_u32_b32 v4, -1, 0
	s_wait_storecnt 0x0
	v_xor_b32_e32 v7, 16, v4
	v_or_b32_e32 v5, 32, v4
	s_delay_alu instid0(VALU_DEP_1) | instskip(SKIP_1) | instid1(VALU_DEP_4)
	v_cmp_gt_i32_e32 vcc_lo, 32, v5
	v_cndmask_b32_e32 v5, v4, v5, vcc_lo
	v_cmp_gt_i32_e32 vcc_lo, 32, v7
	v_cndmask_b32_e32 v7, v4, v7, vcc_lo
	s_delay_alu instid0(VALU_DEP_1)
	v_dual_lshlrev_b32 v7, 2, v7 :: v_dual_lshlrev_b32 v5, 2, v5
	ds_bpermute_b32 v5, v5, v6
	s_wait_dscnt 0x0
	v_max_i32_e32 v5, v6, v5
	ds_bpermute_b32 v6, v7, v5
	v_xor_b32_e32 v7, 8, v4
	s_delay_alu instid0(VALU_DEP_1) | instskip(SKIP_2) | instid1(VALU_DEP_1)
	v_cmp_gt_i32_e32 vcc_lo, 32, v7
	v_cndmask_b32_e32 v7, v4, v7, vcc_lo
	s_wait_dscnt 0x0
	v_dual_lshlrev_b32 v7, 2, v7 :: v_dual_max_i32 v5, v5, v6
	ds_bpermute_b32 v6, v7, v5
	v_xor_b32_e32 v7, 4, v4
	s_delay_alu instid0(VALU_DEP_1) | instskip(SKIP_2) | instid1(VALU_DEP_1)
	v_cmp_gt_i32_e32 vcc_lo, 32, v7
	s_wait_dscnt 0x0
	v_dual_cndmask_b32 v7, v4, v7, vcc_lo :: v_dual_max_i32 v5, v5, v6
	v_lshlrev_b32_e32 v7, 2, v7
	ds_bpermute_b32 v6, v7, v5
	v_xor_b32_e32 v7, 2, v4
	s_delay_alu instid0(VALU_DEP_1) | instskip(SKIP_2) | instid1(VALU_DEP_1)
	v_cmp_gt_i32_e32 vcc_lo, 32, v7
	s_wait_dscnt 0x0
	v_dual_cndmask_b32 v7, v4, v7, vcc_lo :: v_dual_max_i32 v5, v5, v6
	v_lshlrev_b32_e32 v7, 2, v7
	ds_bpermute_b32 v6, v7, v5
	v_xor_b32_e32 v7, 1, v4
	s_delay_alu instid0(VALU_DEP_1) | instskip(SKIP_3) | instid1(VALU_DEP_2)
	v_cmp_gt_i32_e32 vcc_lo, 32, v7
	v_cndmask_b32_e32 v7, v4, v7, vcc_lo
	v_cmp_eq_u32_e32 vcc_lo, 63, v9
	s_wait_dscnt 0x0
	v_dual_lshlrev_b32 v5, 2, v7 :: v_dual_max_i32 v4, v5, v6
	ds_bpermute_b32 v5, v5, v4
	s_and_b32 exec_lo, exec_lo, vcc_lo
	s_cbranch_execz .LBB18_37
; %bb.28:
	s_wait_dscnt 0x0
	v_max_i32_e32 v4, v4, v5
	v_lshl_add_u64 v[6:7], v[2:3], 2, s[4:5]
	s_mov_b32 s1, exec_lo
	s_brev_b32 s0, 1
	s_delay_alu instid0(VALU_DEP_2)
	v_dual_add_nc_u32 v5, 1, v4 :: v_dual_sub_nc_u32 v4, v10, v11
	ds_store_b32 v8, v5
	global_store_b32 v[6:7], v5, off scope:SCOPE_DEV
.LBB18_29:                              ; =>This Inner Loop Header: Depth=1
	s_ctz_i32_b32 s2, s1
	s_delay_alu instid0(SALU_CYCLE_1) | instskip(SKIP_1) | instid1(SALU_CYCLE_1)
	v_readlane_b32 s3, v4, s2
	s_lshl_b32 s2, 1, s2
	s_and_not1_b32 s1, s1, s2
	s_max_i32 s0, s0, s3
	s_cmp_lg_u32 s1, 0
	s_cbranch_scc1 .LBB18_29
; %bb.30:
	v_mbcnt_lo_u32_b32 v4, exec_lo, 0
	s_mov_b32 s1, exec_lo
	s_wait_xcnt 0x0
	s_delay_alu instid0(VALU_DEP_1)
	v_cmpx_eq_u32_e32 0, v4
	s_xor_b32 s1, exec_lo, s1
	s_cbranch_execz .LBB18_32
; %bb.31:
	v_dual_mov_b32 v4, 0 :: v_dual_mov_b32 v5, s0
	global_atomic_max_i32 v4, v5, s[6:7] scope:SCOPE_DEV
.LBB18_32:
	s_wait_xcnt 0x0
	s_or_b32 exec_lo, exec_lo, s1
	global_load_b32 v0, v[0:1], off
	s_cmp_eq_u32 s11, 0
	s_cselect_b32 s0, -1, 0
	s_wait_loadcnt 0x0
	v_cmp_eq_u32_e32 vcc_lo, -1, v0
	s_and_b32 s0, s0, vcc_lo
	s_wait_xcnt 0x0
	s_and_b32 exec_lo, exec_lo, s0
	s_cbranch_execz .LBB18_37
; %bb.33:
	s_mov_b32 s11, 0
	v_mov_b64_e32 v[0:1], -1
	v_add_nc_u64_e32 v[2:3], s[10:11], v[2:3]
	s_mov_b32 s0, exec_lo
.LBB18_34:                              ; =>This Inner Loop Header: Depth=1
	s_delay_alu instid0(SALU_CYCLE_1)
	s_ctz_i32_b32 s1, s0
	s_delay_alu instid0(VALU_DEP_1) | instid1(SALU_CYCLE_1)
	v_readlane_b32 s3, v3, s1
	s_delay_alu instid0(VALU_DEP_2) | instskip(SKIP_1) | instid1(SALU_CYCLE_1)
	v_readlane_b32 s2, v2, s1
	s_lshl_b32 s1, 1, s1
	s_and_not1_b32 s0, s0, s1
	v_min_u64 v[0:1], v[0:1], s[2:3]
	s_cmp_lg_u32 s0, 0
	s_cbranch_scc1 .LBB18_34
; %bb.35:
	v_mbcnt_lo_u32_b32 v2, exec_lo, 0
	s_mov_b32 s0, exec_lo
	s_delay_alu instid0(VALU_DEP_1)
	v_cmpx_eq_u32_e32 0, v2
	s_xor_b32 s0, exec_lo, s0
	s_cbranch_execz .LBB18_37
; %bb.36:
	v_mov_b32_e32 v2, 0
	global_atomic_min_u64 v2, v[0:1], s[8:9] scope:SCOPE_DEV
.LBB18_37:
	s_endpgm
	.section	.rodata,"a",@progbits
	.p2align	6, 0x0
	.amdhsa_kernel _ZN9rocsparseL27csrsv_analysis_upper_kernelILj1024ELj64ELb1EilEEvT3_PKT2_PKS1_PS2_PiS7_PS1_21rocsparse_index_base_20rocsparse_diag_type_
		.amdhsa_group_segment_fixed_size 64
		.amdhsa_private_segment_fixed_size 0
		.amdhsa_kernarg_size 64
		.amdhsa_user_sgpr_count 2
		.amdhsa_user_sgpr_dispatch_ptr 0
		.amdhsa_user_sgpr_queue_ptr 0
		.amdhsa_user_sgpr_kernarg_segment_ptr 1
		.amdhsa_user_sgpr_dispatch_id 0
		.amdhsa_user_sgpr_kernarg_preload_length 0
		.amdhsa_user_sgpr_kernarg_preload_offset 0
		.amdhsa_user_sgpr_private_segment_size 0
		.amdhsa_wavefront_size32 1
		.amdhsa_uses_dynamic_stack 0
		.amdhsa_enable_private_segment 0
		.amdhsa_system_sgpr_workgroup_id_x 1
		.amdhsa_system_sgpr_workgroup_id_y 0
		.amdhsa_system_sgpr_workgroup_id_z 0
		.amdhsa_system_sgpr_workgroup_info 0
		.amdhsa_system_vgpr_workitem_id 0
		.amdhsa_next_free_vgpr 15
		.amdhsa_next_free_sgpr 26
		.amdhsa_named_barrier_count 0
		.amdhsa_reserve_vcc 1
		.amdhsa_float_round_mode_32 0
		.amdhsa_float_round_mode_16_64 0
		.amdhsa_float_denorm_mode_32 3
		.amdhsa_float_denorm_mode_16_64 3
		.amdhsa_fp16_overflow 0
		.amdhsa_memory_ordered 1
		.amdhsa_forward_progress 1
		.amdhsa_inst_pref_size 12
		.amdhsa_round_robin_scheduling 0
		.amdhsa_exception_fp_ieee_invalid_op 0
		.amdhsa_exception_fp_denorm_src 0
		.amdhsa_exception_fp_ieee_div_zero 0
		.amdhsa_exception_fp_ieee_overflow 0
		.amdhsa_exception_fp_ieee_underflow 0
		.amdhsa_exception_fp_ieee_inexact 0
		.amdhsa_exception_int_div_zero 0
	.end_amdhsa_kernel
	.section	.text._ZN9rocsparseL27csrsv_analysis_upper_kernelILj1024ELj64ELb1EilEEvT3_PKT2_PKS1_PS2_PiS7_PS1_21rocsparse_index_base_20rocsparse_diag_type_,"axG",@progbits,_ZN9rocsparseL27csrsv_analysis_upper_kernelILj1024ELj64ELb1EilEEvT3_PKT2_PKS1_PS2_PiS7_PS1_21rocsparse_index_base_20rocsparse_diag_type_,comdat
.Lfunc_end18:
	.size	_ZN9rocsparseL27csrsv_analysis_upper_kernelILj1024ELj64ELb1EilEEvT3_PKT2_PKS1_PS2_PiS7_PS1_21rocsparse_index_base_20rocsparse_diag_type_, .Lfunc_end18-_ZN9rocsparseL27csrsv_analysis_upper_kernelILj1024ELj64ELb1EilEEvT3_PKT2_PKS1_PS2_PiS7_PS1_21rocsparse_index_base_20rocsparse_diag_type_
                                        ; -- End function
	.set _ZN9rocsparseL27csrsv_analysis_upper_kernelILj1024ELj64ELb1EilEEvT3_PKT2_PKS1_PS2_PiS7_PS1_21rocsparse_index_base_20rocsparse_diag_type_.num_vgpr, 15
	.set _ZN9rocsparseL27csrsv_analysis_upper_kernelILj1024ELj64ELb1EilEEvT3_PKT2_PKS1_PS2_PiS7_PS1_21rocsparse_index_base_20rocsparse_diag_type_.num_agpr, 0
	.set _ZN9rocsparseL27csrsv_analysis_upper_kernelILj1024ELj64ELb1EilEEvT3_PKT2_PKS1_PS2_PiS7_PS1_21rocsparse_index_base_20rocsparse_diag_type_.numbered_sgpr, 26
	.set _ZN9rocsparseL27csrsv_analysis_upper_kernelILj1024ELj64ELb1EilEEvT3_PKT2_PKS1_PS2_PiS7_PS1_21rocsparse_index_base_20rocsparse_diag_type_.num_named_barrier, 0
	.set _ZN9rocsparseL27csrsv_analysis_upper_kernelILj1024ELj64ELb1EilEEvT3_PKT2_PKS1_PS2_PiS7_PS1_21rocsparse_index_base_20rocsparse_diag_type_.private_seg_size, 0
	.set _ZN9rocsparseL27csrsv_analysis_upper_kernelILj1024ELj64ELb1EilEEvT3_PKT2_PKS1_PS2_PiS7_PS1_21rocsparse_index_base_20rocsparse_diag_type_.uses_vcc, 1
	.set _ZN9rocsparseL27csrsv_analysis_upper_kernelILj1024ELj64ELb1EilEEvT3_PKT2_PKS1_PS2_PiS7_PS1_21rocsparse_index_base_20rocsparse_diag_type_.uses_flat_scratch, 0
	.set _ZN9rocsparseL27csrsv_analysis_upper_kernelILj1024ELj64ELb1EilEEvT3_PKT2_PKS1_PS2_PiS7_PS1_21rocsparse_index_base_20rocsparse_diag_type_.has_dyn_sized_stack, 0
	.set _ZN9rocsparseL27csrsv_analysis_upper_kernelILj1024ELj64ELb1EilEEvT3_PKT2_PKS1_PS2_PiS7_PS1_21rocsparse_index_base_20rocsparse_diag_type_.has_recursion, 0
	.set _ZN9rocsparseL27csrsv_analysis_upper_kernelILj1024ELj64ELb1EilEEvT3_PKT2_PKS1_PS2_PiS7_PS1_21rocsparse_index_base_20rocsparse_diag_type_.has_indirect_call, 0
	.section	.AMDGPU.csdata,"",@progbits
; Kernel info:
; codeLenInByte = 1428
; TotalNumSgprs: 28
; NumVgprs: 15
; ScratchSize: 0
; MemoryBound: 0
; FloatMode: 240
; IeeeMode: 1
; LDSByteSize: 64 bytes/workgroup (compile time only)
; SGPRBlocks: 0
; VGPRBlocks: 0
; NumSGPRsForWavesPerEU: 28
; NumVGPRsForWavesPerEU: 15
; NamedBarCnt: 0
; Occupancy: 16
; WaveLimiterHint : 1
; COMPUTE_PGM_RSRC2:SCRATCH_EN: 0
; COMPUTE_PGM_RSRC2:USER_SGPR: 2
; COMPUTE_PGM_RSRC2:TRAP_HANDLER: 0
; COMPUTE_PGM_RSRC2:TGID_X_EN: 1
; COMPUTE_PGM_RSRC2:TGID_Y_EN: 0
; COMPUTE_PGM_RSRC2:TGID_Z_EN: 0
; COMPUTE_PGM_RSRC2:TIDIG_COMP_CNT: 0
	.section	.text._ZN9rocsparseL27csrsv_analysis_lower_kernelILj1024ELj64ELb1EilEEvT3_PKT2_PKS1_PS2_PiS7_PS1_21rocsparse_index_base_20rocsparse_diag_type_,"axG",@progbits,_ZN9rocsparseL27csrsv_analysis_lower_kernelILj1024ELj64ELb1EilEEvT3_PKT2_PKS1_PS2_PiS7_PS1_21rocsparse_index_base_20rocsparse_diag_type_,comdat
	.globl	_ZN9rocsparseL27csrsv_analysis_lower_kernelILj1024ELj64ELb1EilEEvT3_PKT2_PKS1_PS2_PiS7_PS1_21rocsparse_index_base_20rocsparse_diag_type_ ; -- Begin function _ZN9rocsparseL27csrsv_analysis_lower_kernelILj1024ELj64ELb1EilEEvT3_PKT2_PKS1_PS2_PiS7_PS1_21rocsparse_index_base_20rocsparse_diag_type_
	.p2align	8
	.type	_ZN9rocsparseL27csrsv_analysis_lower_kernelILj1024ELj64ELb1EilEEvT3_PKT2_PKS1_PS2_PiS7_PS1_21rocsparse_index_base_20rocsparse_diag_type_,@function
_ZN9rocsparseL27csrsv_analysis_lower_kernelILj1024ELj64ELb1EilEEvT3_PKT2_PKS1_PS2_PiS7_PS1_21rocsparse_index_base_20rocsparse_diag_type_: ; @_ZN9rocsparseL27csrsv_analysis_lower_kernelILj1024ELj64ELb1EilEEvT3_PKT2_PKS1_PS2_PiS7_PS1_21rocsparse_index_base_20rocsparse_diag_type_
; %bb.0:
	s_load_b64 s[4:5], s[0:1], 0x0
	s_bfe_u32 s2, ttmp6, 0x4000c
	s_and_b32 s3, ttmp6, 15
	s_add_co_i32 s2, s2, 1
	s_getreg_b32 s6, hwreg(HW_REG_IB_STS2, 6, 4)
	s_mul_i32 s2, ttmp9, s2
	v_dual_lshrrev_b32 v1, 6, v0 :: v_dual_mov_b32 v3, 0
	s_add_co_i32 s3, s3, s2
	s_cmp_eq_u32 s6, 0
	s_cselect_b32 s2, ttmp9, s3
	s_mov_b32 s3, exec_lo
	s_lshl_b32 s2, s2, 4
	s_delay_alu instid0(SALU_CYCLE_1)
	v_dual_lshlrev_b32 v8, 2, v1 :: v_dual_bitop2_b32 v2, s2, v1 bitop3:0x54
	ds_store_b32 v8, v3
	s_wait_dscnt 0x0
	s_barrier_signal -1
	s_barrier_wait -1
	s_wait_kmcnt 0x0
	v_cmpx_gt_i64_e64 s[4:5], v[2:3]
	s_cbranch_execz .LBB19_37
; %bb.1:
	s_clause 0x1
	s_load_b64 s[6:7], s[0:1], 0x18
	s_load_b64 s[4:5], s[0:1], 0x8
	v_and_b32_e32 v9, 63, v0
	s_mov_b32 s3, exec_lo
	s_wait_kmcnt 0x0
	v_lshl_add_u64 v[0:1], v[2:3], 2, s[6:7]
	s_delay_alu instid0(VALU_DEP_2)
	v_cmpx_eq_u32_e32 0, v9
	s_cbranch_execz .LBB19_3
; %bb.2:
	v_mov_b32_e32 v4, -1
	global_store_b32 v[0:1], v4, off
.LBB19_3:
	s_wait_xcnt 0x0
	s_or_b32 exec_lo, exec_lo, s3
	v_lshl_add_u64 v[4:5], v[2:3], 2, s[4:5]
	s_load_b256 s[4:11], s[0:1], 0x20
	s_mov_b32 s14, exec_lo
	v_mov_b32_e32 v6, 0
	global_load_b64 v[4:5], v[4:5], off
	s_wait_loadcnt 0x0
	s_wait_kmcnt 0x0
	v_subrev_nc_u32_e32 v10, s10, v4
	v_subrev_nc_u32_e32 v11, s10, v5
	s_delay_alu instid0(VALU_DEP_2) | instskip(SKIP_1) | instid1(VALU_DEP_1)
	v_add_nc_u32_e32 v7, v10, v9
	s_wait_xcnt 0x0
	v_cmpx_lt_i32_e64 v7, v11
	s_cbranch_execz .LBB19_27
; %bb.4:
	s_load_b64 s[0:1], s[0:1], 0x10
	v_mov_b32_e32 v6, 0
	s_mov_b32 s3, 0
	s_mov_b32 s12, s10
	;; [unrolled: 1-line block ×4, first 2 shown]
                                        ; implicit-def: $sgpr15
                                        ; implicit-def: $sgpr18
                                        ; implicit-def: $sgpr17
	s_branch .LBB19_8
.LBB19_5:                               ;   in Loop: Header=BB19_8 Depth=1
	s_or_b32 exec_lo, exec_lo, s21
.LBB19_6:                               ;   in Loop: Header=BB19_8 Depth=1
	s_delay_alu instid0(SALU_CYCLE_1) | instskip(SKIP_3) | instid1(VALU_DEP_1)
	s_or_b32 exec_lo, exec_lo, s20
	v_dual_add_nc_u32 v7, 64, v13 :: v_dual_max_i32 v6, v14, v12
	s_and_not1_b32 s18, s18, exec_lo
	s_and_not1_b32 s17, s17, exec_lo
	v_cmp_ge_i32_e32 vcc_lo, v7, v11
	s_and_b32 s20, vcc_lo, exec_lo
	s_delay_alu instid0(SALU_CYCLE_1)
	s_or_b32 s18, s18, s20
.LBB19_7:                               ;   in Loop: Header=BB19_8 Depth=1
	s_or_b32 exec_lo, exec_lo, s19
	s_delay_alu instid0(SALU_CYCLE_1) | instskip(NEXT) | instid1(SALU_CYCLE_1)
	s_and_b32 s19, exec_lo, s18
	s_or_b32 s16, s19, s16
	s_and_not1_b32 s15, s15, exec_lo
	s_and_b32 s19, s17, exec_lo
	s_delay_alu instid0(SALU_CYCLE_1)
	s_or_b32 s15, s15, s19
	s_and_not1_b32 exec_lo, exec_lo, s16
	s_cbranch_execz .LBB19_14
.LBB19_8:                               ; =>This Loop Header: Depth=1
                                        ;     Child Loop BB19_12 Depth 2
                                        ;       Child Loop BB19_13 Depth 3
	s_wait_kmcnt 0x0
	global_load_b64 v[4:5], v7, s[0:1] scale_offset th:TH_LOAD_NT
	v_dual_mov_b32 v13, v7 :: v_dual_mov_b32 v12, v6
	s_or_b32 s17, s17, exec_lo
	s_or_b32 s18, s18, exec_lo
	s_mov_b32 s19, exec_lo
                                        ; implicit-def: $vgpr7
                                        ; implicit-def: $vgpr6
	s_wait_loadcnt 0x0
	v_sub_nc_u64_e64 v[4:5], v[4:5], s[12:13]
	s_wait_xcnt 0x0
	s_delay_alu instid0(VALU_DEP_1)
	v_cmpx_gt_i64_e64 s[2:3], v[4:5]
	s_cbranch_execz .LBB19_7
; %bb.9:                                ;   in Loop: Header=BB19_8 Depth=1
	v_lshl_add_u64 v[6:7], v[4:5], 2, s[4:5]
	s_mov_b32 s20, exec_lo
	global_load_b32 v14, v[6:7], off scope:SCOPE_DEV
	s_wait_loadcnt 0x0
	v_cmpx_eq_u32_e32 0, v14
	s_cbranch_execz .LBB19_6
; %bb.10:                               ;   in Loop: Header=BB19_8 Depth=1
	s_mov_b32 s21, 0
	s_mov_b32 s22, 0
	s_branch .LBB19_12
.LBB19_11:                              ;   in Loop: Header=BB19_12 Depth=2
	global_load_b32 v14, v[6:7], off scope:SCOPE_DEV
	s_cmp_lt_u32 s22, 0xf43
	s_cselect_b32 s23, -1, 0
	s_delay_alu instid0(SALU_CYCLE_1)
	s_cmp_lg_u32 s23, 0
	s_add_co_ci_u32 s22, s22, 0
	s_wait_loadcnt 0x0
	v_cmp_ne_u32_e32 vcc_lo, 0, v14
	s_or_b32 s21, vcc_lo, s21
	s_wait_xcnt 0x0
	s_and_not1_b32 exec_lo, exec_lo, s21
	s_cbranch_execz .LBB19_5
.LBB19_12:                              ;   Parent Loop BB19_8 Depth=1
                                        ; =>  This Loop Header: Depth=2
                                        ;       Child Loop BB19_13 Depth 3
	s_cmp_eq_u32 s22, 0
	s_mov_b32 s23, s22
	s_cbranch_scc1 .LBB19_11
.LBB19_13:                              ;   Parent Loop BB19_8 Depth=1
                                        ;     Parent Loop BB19_12 Depth=2
                                        ; =>    This Inner Loop Header: Depth=3
	s_add_co_i32 s23, s23, -1
	s_sleep 1
	s_cmp_eq_u32 s23, 0
	s_cbranch_scc0 .LBB19_13
	s_branch .LBB19_11
.LBB19_14:
	s_or_b32 exec_lo, exec_lo, s16
	s_and_saveexec_b32 s0, s15
	s_delay_alu instid0(SALU_CYCLE_1)
	s_xor_b32 s0, exec_lo, s0
	s_cbranch_execz .LBB19_26
; %bb.15:
	s_mov_b32 s1, exec_lo
	v_cmpx_eq_u64_e64 v[4:5], v[2:3]
	s_cbranch_execz .LBB19_17
; %bb.16:
	global_store_b32 v[0:1], v13, off
.LBB19_17:
	s_wait_xcnt 0x0
	s_or_b32 exec_lo, exec_lo, s1
	s_delay_alu instid0(SALU_CYCLE_1)
	s_mov_b32 s1, exec_lo
	v_cmpx_lt_i64_e64 v[4:5], v[2:3]
	s_cbranch_execz .LBB19_25
; %bb.18:
	v_subrev_nc_u32_e32 v4, s2, v4
	s_mov_b32 s3, 0
	s_mov_b32 s2, exec_lo
	s_delay_alu instid0(VALU_DEP_1)
	v_lshlrev_b32_e32 v4, 2, v4
	ds_load_b32 v5, v4
	s_wait_dscnt 0x0
	v_cmpx_eq_u32_e32 0, v5
	s_cbranch_execz .LBB19_24
; %bb.19:
	s_mov_b32 s12, 0
	s_branch .LBB19_21
.LBB19_20:                              ;   in Loop: Header=BB19_21 Depth=1
	ds_load_b32 v5, v4
	s_cmp_lt_u32 s12, 0xf43
	s_cselect_b32 s13, -1, 0
	s_delay_alu instid0(SALU_CYCLE_1) | instskip(SKIP_4) | instid1(SALU_CYCLE_1)
	s_cmp_lg_u32 s13, 0
	s_add_co_ci_u32 s12, s12, 0
	s_wait_dscnt 0x0
	v_cmp_ne_u32_e32 vcc_lo, 0, v5
	s_or_b32 s3, vcc_lo, s3
	s_and_not1_b32 exec_lo, exec_lo, s3
	s_cbranch_execz .LBB19_23
.LBB19_21:                              ; =>This Loop Header: Depth=1
                                        ;     Child Loop BB19_22 Depth 2
	s_cmp_eq_u32 s12, 0
	s_mov_b32 s13, s12
	s_cbranch_scc1 .LBB19_20
.LBB19_22:                              ;   Parent Loop BB19_21 Depth=1
                                        ; =>  This Inner Loop Header: Depth=2
	s_add_co_i32 s13, s13, -1
	s_sleep 1
	s_cmp_eq_u32 s13, 0
	s_cbranch_scc0 .LBB19_22
	s_branch .LBB19_20
.LBB19_23:
	s_or_b32 exec_lo, exec_lo, s3
.LBB19_24:
	s_delay_alu instid0(SALU_CYCLE_1)
	s_or_b32 exec_lo, exec_lo, s2
	v_max_i32_e32 v12, v5, v12
.LBB19_25:
	s_or_b32 exec_lo, exec_lo, s1
	s_delay_alu instid0(VALU_DEP_1)
	v_mov_b32_e32 v6, v12
.LBB19_26:
	s_or_b32 exec_lo, exec_lo, s0
.LBB19_27:
	s_delay_alu instid0(SALU_CYCLE_1) | instskip(SKIP_2) | instid1(VALU_DEP_1)
	s_or_b32 exec_lo, exec_lo, s14
	v_mbcnt_lo_u32_b32 v4, -1, 0
	s_wait_storecnt 0x0
	v_xor_b32_e32 v7, 16, v4
	v_or_b32_e32 v5, 32, v4
	s_delay_alu instid0(VALU_DEP_1) | instskip(SKIP_1) | instid1(VALU_DEP_4)
	v_cmp_gt_i32_e32 vcc_lo, 32, v5
	v_cndmask_b32_e32 v5, v4, v5, vcc_lo
	v_cmp_gt_i32_e32 vcc_lo, 32, v7
	v_cndmask_b32_e32 v7, v4, v7, vcc_lo
	s_delay_alu instid0(VALU_DEP_1)
	v_dual_lshlrev_b32 v7, 2, v7 :: v_dual_lshlrev_b32 v5, 2, v5
	ds_bpermute_b32 v5, v5, v6
	s_wait_dscnt 0x0
	v_max_i32_e32 v5, v6, v5
	ds_bpermute_b32 v6, v7, v5
	v_xor_b32_e32 v7, 8, v4
	s_delay_alu instid0(VALU_DEP_1) | instskip(SKIP_2) | instid1(VALU_DEP_1)
	v_cmp_gt_i32_e32 vcc_lo, 32, v7
	v_cndmask_b32_e32 v7, v4, v7, vcc_lo
	s_wait_dscnt 0x0
	v_dual_lshlrev_b32 v7, 2, v7 :: v_dual_max_i32 v5, v5, v6
	ds_bpermute_b32 v6, v7, v5
	v_xor_b32_e32 v7, 4, v4
	s_delay_alu instid0(VALU_DEP_1) | instskip(SKIP_2) | instid1(VALU_DEP_1)
	v_cmp_gt_i32_e32 vcc_lo, 32, v7
	s_wait_dscnt 0x0
	v_dual_cndmask_b32 v7, v4, v7, vcc_lo :: v_dual_max_i32 v5, v5, v6
	v_lshlrev_b32_e32 v7, 2, v7
	ds_bpermute_b32 v6, v7, v5
	v_xor_b32_e32 v7, 2, v4
	s_delay_alu instid0(VALU_DEP_1) | instskip(SKIP_2) | instid1(VALU_DEP_1)
	v_cmp_gt_i32_e32 vcc_lo, 32, v7
	s_wait_dscnt 0x0
	v_dual_cndmask_b32 v7, v4, v7, vcc_lo :: v_dual_max_i32 v5, v5, v6
	v_lshlrev_b32_e32 v7, 2, v7
	ds_bpermute_b32 v6, v7, v5
	v_xor_b32_e32 v7, 1, v4
	s_delay_alu instid0(VALU_DEP_1) | instskip(SKIP_3) | instid1(VALU_DEP_2)
	v_cmp_gt_i32_e32 vcc_lo, 32, v7
	v_cndmask_b32_e32 v7, v4, v7, vcc_lo
	v_cmp_eq_u32_e32 vcc_lo, 63, v9
	s_wait_dscnt 0x0
	v_dual_lshlrev_b32 v5, 2, v7 :: v_dual_max_i32 v4, v5, v6
	ds_bpermute_b32 v5, v5, v4
	s_and_b32 exec_lo, exec_lo, vcc_lo
	s_cbranch_execz .LBB19_37
; %bb.28:
	s_wait_dscnt 0x0
	v_max_i32_e32 v4, v4, v5
	v_lshl_add_u64 v[6:7], v[2:3], 2, s[4:5]
	s_mov_b32 s1, exec_lo
	s_brev_b32 s0, 1
	s_delay_alu instid0(VALU_DEP_2)
	v_dual_add_nc_u32 v5, 1, v4 :: v_dual_sub_nc_u32 v4, v11, v10
	ds_store_b32 v8, v5
	global_store_b32 v[6:7], v5, off scope:SCOPE_DEV
.LBB19_29:                              ; =>This Inner Loop Header: Depth=1
	s_ctz_i32_b32 s2, s1
	s_delay_alu instid0(SALU_CYCLE_1) | instskip(SKIP_1) | instid1(SALU_CYCLE_1)
	v_readlane_b32 s3, v4, s2
	s_lshl_b32 s2, 1, s2
	s_and_not1_b32 s1, s1, s2
	s_max_i32 s0, s0, s3
	s_cmp_lg_u32 s1, 0
	s_cbranch_scc1 .LBB19_29
; %bb.30:
	v_mbcnt_lo_u32_b32 v4, exec_lo, 0
	s_mov_b32 s1, exec_lo
	s_wait_xcnt 0x0
	s_delay_alu instid0(VALU_DEP_1)
	v_cmpx_eq_u32_e32 0, v4
	s_xor_b32 s1, exec_lo, s1
	s_cbranch_execz .LBB19_32
; %bb.31:
	v_dual_mov_b32 v4, 0 :: v_dual_mov_b32 v5, s0
	global_atomic_max_i32 v4, v5, s[6:7] scope:SCOPE_DEV
.LBB19_32:
	s_wait_xcnt 0x0
	s_or_b32 exec_lo, exec_lo, s1
	global_load_b32 v0, v[0:1], off
	s_cmp_eq_u32 s11, 0
	s_cselect_b32 s0, -1, 0
	s_wait_loadcnt 0x0
	v_cmp_eq_u32_e32 vcc_lo, -1, v0
	s_and_b32 s0, s0, vcc_lo
	s_wait_xcnt 0x0
	s_and_b32 exec_lo, exec_lo, s0
	s_cbranch_execz .LBB19_37
; %bb.33:
	s_mov_b32 s11, 0
	v_mov_b64_e32 v[0:1], -1
	v_add_nc_u64_e32 v[2:3], s[10:11], v[2:3]
	s_mov_b32 s0, exec_lo
.LBB19_34:                              ; =>This Inner Loop Header: Depth=1
	s_delay_alu instid0(SALU_CYCLE_1)
	s_ctz_i32_b32 s1, s0
	s_delay_alu instid0(VALU_DEP_1) | instid1(SALU_CYCLE_1)
	v_readlane_b32 s3, v3, s1
	s_delay_alu instid0(VALU_DEP_2) | instskip(SKIP_1) | instid1(SALU_CYCLE_1)
	v_readlane_b32 s2, v2, s1
	s_lshl_b32 s1, 1, s1
	s_and_not1_b32 s0, s0, s1
	v_min_u64 v[0:1], v[0:1], s[2:3]
	s_cmp_lg_u32 s0, 0
	s_cbranch_scc1 .LBB19_34
; %bb.35:
	v_mbcnt_lo_u32_b32 v2, exec_lo, 0
	s_mov_b32 s0, exec_lo
	s_delay_alu instid0(VALU_DEP_1)
	v_cmpx_eq_u32_e32 0, v2
	s_xor_b32 s0, exec_lo, s0
	s_cbranch_execz .LBB19_37
; %bb.36:
	v_mov_b32_e32 v2, 0
	global_atomic_min_u64 v2, v[0:1], s[8:9] scope:SCOPE_DEV
.LBB19_37:
	s_endpgm
	.section	.rodata,"a",@progbits
	.p2align	6, 0x0
	.amdhsa_kernel _ZN9rocsparseL27csrsv_analysis_lower_kernelILj1024ELj64ELb1EilEEvT3_PKT2_PKS1_PS2_PiS7_PS1_21rocsparse_index_base_20rocsparse_diag_type_
		.amdhsa_group_segment_fixed_size 64
		.amdhsa_private_segment_fixed_size 0
		.amdhsa_kernarg_size 64
		.amdhsa_user_sgpr_count 2
		.amdhsa_user_sgpr_dispatch_ptr 0
		.amdhsa_user_sgpr_queue_ptr 0
		.amdhsa_user_sgpr_kernarg_segment_ptr 1
		.amdhsa_user_sgpr_dispatch_id 0
		.amdhsa_user_sgpr_kernarg_preload_length 0
		.amdhsa_user_sgpr_kernarg_preload_offset 0
		.amdhsa_user_sgpr_private_segment_size 0
		.amdhsa_wavefront_size32 1
		.amdhsa_uses_dynamic_stack 0
		.amdhsa_enable_private_segment 0
		.amdhsa_system_sgpr_workgroup_id_x 1
		.amdhsa_system_sgpr_workgroup_id_y 0
		.amdhsa_system_sgpr_workgroup_id_z 0
		.amdhsa_system_sgpr_workgroup_info 0
		.amdhsa_system_vgpr_workitem_id 0
		.amdhsa_next_free_vgpr 15
		.amdhsa_next_free_sgpr 24
		.amdhsa_named_barrier_count 0
		.amdhsa_reserve_vcc 1
		.amdhsa_float_round_mode_32 0
		.amdhsa_float_round_mode_16_64 0
		.amdhsa_float_denorm_mode_32 3
		.amdhsa_float_denorm_mode_16_64 3
		.amdhsa_fp16_overflow 0
		.amdhsa_memory_ordered 1
		.amdhsa_forward_progress 1
		.amdhsa_inst_pref_size 12
		.amdhsa_round_robin_scheduling 0
		.amdhsa_exception_fp_ieee_invalid_op 0
		.amdhsa_exception_fp_denorm_src 0
		.amdhsa_exception_fp_ieee_div_zero 0
		.amdhsa_exception_fp_ieee_overflow 0
		.amdhsa_exception_fp_ieee_underflow 0
		.amdhsa_exception_fp_ieee_inexact 0
		.amdhsa_exception_int_div_zero 0
	.end_amdhsa_kernel
	.section	.text._ZN9rocsparseL27csrsv_analysis_lower_kernelILj1024ELj64ELb1EilEEvT3_PKT2_PKS1_PS2_PiS7_PS1_21rocsparse_index_base_20rocsparse_diag_type_,"axG",@progbits,_ZN9rocsparseL27csrsv_analysis_lower_kernelILj1024ELj64ELb1EilEEvT3_PKT2_PKS1_PS2_PiS7_PS1_21rocsparse_index_base_20rocsparse_diag_type_,comdat
.Lfunc_end19:
	.size	_ZN9rocsparseL27csrsv_analysis_lower_kernelILj1024ELj64ELb1EilEEvT3_PKT2_PKS1_PS2_PiS7_PS1_21rocsparse_index_base_20rocsparse_diag_type_, .Lfunc_end19-_ZN9rocsparseL27csrsv_analysis_lower_kernelILj1024ELj64ELb1EilEEvT3_PKT2_PKS1_PS2_PiS7_PS1_21rocsparse_index_base_20rocsparse_diag_type_
                                        ; -- End function
	.set _ZN9rocsparseL27csrsv_analysis_lower_kernelILj1024ELj64ELb1EilEEvT3_PKT2_PKS1_PS2_PiS7_PS1_21rocsparse_index_base_20rocsparse_diag_type_.num_vgpr, 15
	.set _ZN9rocsparseL27csrsv_analysis_lower_kernelILj1024ELj64ELb1EilEEvT3_PKT2_PKS1_PS2_PiS7_PS1_21rocsparse_index_base_20rocsparse_diag_type_.num_agpr, 0
	.set _ZN9rocsparseL27csrsv_analysis_lower_kernelILj1024ELj64ELb1EilEEvT3_PKT2_PKS1_PS2_PiS7_PS1_21rocsparse_index_base_20rocsparse_diag_type_.numbered_sgpr, 24
	.set _ZN9rocsparseL27csrsv_analysis_lower_kernelILj1024ELj64ELb1EilEEvT3_PKT2_PKS1_PS2_PiS7_PS1_21rocsparse_index_base_20rocsparse_diag_type_.num_named_barrier, 0
	.set _ZN9rocsparseL27csrsv_analysis_lower_kernelILj1024ELj64ELb1EilEEvT3_PKT2_PKS1_PS2_PiS7_PS1_21rocsparse_index_base_20rocsparse_diag_type_.private_seg_size, 0
	.set _ZN9rocsparseL27csrsv_analysis_lower_kernelILj1024ELj64ELb1EilEEvT3_PKT2_PKS1_PS2_PiS7_PS1_21rocsparse_index_base_20rocsparse_diag_type_.uses_vcc, 1
	.set _ZN9rocsparseL27csrsv_analysis_lower_kernelILj1024ELj64ELb1EilEEvT3_PKT2_PKS1_PS2_PiS7_PS1_21rocsparse_index_base_20rocsparse_diag_type_.uses_flat_scratch, 0
	.set _ZN9rocsparseL27csrsv_analysis_lower_kernelILj1024ELj64ELb1EilEEvT3_PKT2_PKS1_PS2_PiS7_PS1_21rocsparse_index_base_20rocsparse_diag_type_.has_dyn_sized_stack, 0
	.set _ZN9rocsparseL27csrsv_analysis_lower_kernelILj1024ELj64ELb1EilEEvT3_PKT2_PKS1_PS2_PiS7_PS1_21rocsparse_index_base_20rocsparse_diag_type_.has_recursion, 0
	.set _ZN9rocsparseL27csrsv_analysis_lower_kernelILj1024ELj64ELb1EilEEvT3_PKT2_PKS1_PS2_PiS7_PS1_21rocsparse_index_base_20rocsparse_diag_type_.has_indirect_call, 0
	.section	.AMDGPU.csdata,"",@progbits
; Kernel info:
; codeLenInByte = 1416
; TotalNumSgprs: 26
; NumVgprs: 15
; ScratchSize: 0
; MemoryBound: 0
; FloatMode: 240
; IeeeMode: 1
; LDSByteSize: 64 bytes/workgroup (compile time only)
; SGPRBlocks: 0
; VGPRBlocks: 0
; NumSGPRsForWavesPerEU: 26
; NumVGPRsForWavesPerEU: 15
; NamedBarCnt: 0
; Occupancy: 16
; WaveLimiterHint : 1
; COMPUTE_PGM_RSRC2:SCRATCH_EN: 0
; COMPUTE_PGM_RSRC2:USER_SGPR: 2
; COMPUTE_PGM_RSRC2:TRAP_HANDLER: 0
; COMPUTE_PGM_RSRC2:TGID_X_EN: 1
; COMPUTE_PGM_RSRC2:TGID_Y_EN: 0
; COMPUTE_PGM_RSRC2:TGID_Z_EN: 0
; COMPUTE_PGM_RSRC2:TIDIG_COMP_CNT: 0
	.section	.text._ZN9rocsparseL27csrsv_analysis_upper_kernelILj1024ELj32ELb0EilEEvT3_PKT2_PKS1_PS2_PiS7_PS1_21rocsparse_index_base_20rocsparse_diag_type_,"axG",@progbits,_ZN9rocsparseL27csrsv_analysis_upper_kernelILj1024ELj32ELb0EilEEvT3_PKT2_PKS1_PS2_PiS7_PS1_21rocsparse_index_base_20rocsparse_diag_type_,comdat
	.globl	_ZN9rocsparseL27csrsv_analysis_upper_kernelILj1024ELj32ELb0EilEEvT3_PKT2_PKS1_PS2_PiS7_PS1_21rocsparse_index_base_20rocsparse_diag_type_ ; -- Begin function _ZN9rocsparseL27csrsv_analysis_upper_kernelILj1024ELj32ELb0EilEEvT3_PKT2_PKS1_PS2_PiS7_PS1_21rocsparse_index_base_20rocsparse_diag_type_
	.p2align	8
	.type	_ZN9rocsparseL27csrsv_analysis_upper_kernelILj1024ELj32ELb0EilEEvT3_PKT2_PKS1_PS2_PiS7_PS1_21rocsparse_index_base_20rocsparse_diag_type_,@function
_ZN9rocsparseL27csrsv_analysis_upper_kernelILj1024ELj32ELb0EilEEvT3_PKT2_PKS1_PS2_PiS7_PS1_21rocsparse_index_base_20rocsparse_diag_type_: ; @_ZN9rocsparseL27csrsv_analysis_upper_kernelILj1024ELj32ELb0EilEEvT3_PKT2_PKS1_PS2_PiS7_PS1_21rocsparse_index_base_20rocsparse_diag_type_
; %bb.0:
	s_load_b64 s[2:3], s[0:1], 0x0
	s_bfe_u32 s4, ttmp6, 0x4000c
	s_and_b32 s5, ttmp6, 15
	s_add_co_i32 s4, s4, 1
	s_getreg_b32 s6, hwreg(HW_REG_IB_STS2, 6, 4)
	s_mul_i32 s4, ttmp9, s4
	s_mov_b32 s13, 0
	s_add_co_i32 s5, s5, s4
	s_cmp_eq_u32 s6, 0
	v_dual_mov_b32 v5, 0 :: v_dual_lshrrev_b32 v4, 5, v0
	s_cselect_b32 s4, ttmp9, s5
	s_delay_alu instid0(SALU_CYCLE_1) | instskip(NEXT) | instid1(VALU_DEP_1)
	s_lshl_b32 s12, s4, 5
	v_lshlrev_b32_e32 v8, 2, v4
	s_not_b64 s[4:5], s[12:13]
	ds_store_b32 v8, v5
	s_wait_kmcnt 0x0
	s_add_nc_u64 s[14:15], s[2:3], s[4:5]
	s_wait_dscnt 0x0
	v_sub_nc_u64_e32 v[2:3], s[14:15], v[4:5]
	s_barrier_signal -1
	s_barrier_wait -1
	s_mov_b32 s3, exec_lo
	s_delay_alu instid0(VALU_DEP_1)
	v_cmpx_lt_i64_e32 -1, v[2:3]
	s_cbranch_execz .LBB20_32
; %bb.1:
	s_clause 0x1
	s_load_b64 s[6:7], s[0:1], 0x18
	s_load_b64 s[4:5], s[0:1], 0x8
	v_and_b32_e32 v9, 31, v0
	s_mov_b32 s3, exec_lo
	s_wait_kmcnt 0x0
	v_lshl_add_u64 v[0:1], v[2:3], 2, s[6:7]
	s_delay_alu instid0(VALU_DEP_2)
	v_cmpx_eq_u32_e32 0, v9
	s_cbranch_execz .LBB20_3
; %bb.2:
	v_mov_b32_e32 v4, -1
	global_store_b32 v[0:1], v4, off
.LBB20_3:
	s_wait_xcnt 0x0
	s_or_b32 exec_lo, exec_lo, s3
	v_lshl_add_u64 v[4:5], v[2:3], 2, s[4:5]
	s_load_b256 s[4:11], s[0:1], 0x20
	v_mov_b32_e32 v6, 0
	s_mov_b32 s3, exec_lo
	global_load_b64 v[4:5], v[4:5], off
	s_wait_loadcnt 0x0
	s_wait_kmcnt 0x0
	v_subrev_nc_u32_e32 v10, s10, v5
	v_subrev_nc_u32_e32 v11, s10, v4
	s_delay_alu instid0(VALU_DEP_2) | instskip(SKIP_1) | instid1(VALU_DEP_1)
	v_xad_u32 v7, v9, -1, v10
	s_wait_xcnt 0x0
	v_cmpx_ge_i32_e64 v7, v11
	s_cbranch_execz .LBB20_22
; %bb.4:
	s_load_b64 s[0:1], s[0:1], 0x10
	v_mov_b32_e32 v6, 0
	s_mov_b32 s17, 0
	s_mov_b32 s16, s10
	;; [unrolled: 1-line block ×3, first 2 shown]
                                        ; implicit-def: $sgpr13
                                        ; implicit-def: $sgpr20
                                        ; implicit-def: $sgpr19
	s_branch .LBB20_7
.LBB20_5:                               ;   in Loop: Header=BB20_7 Depth=1
	s_or_b32 exec_lo, exec_lo, s22
	v_subrev_nc_u32_e32 v7, 32, v13
	v_max_i32_e32 v6, v14, v12
	s_and_not1_b32 s20, s20, exec_lo
	s_and_not1_b32 s19, s19, exec_lo
	s_delay_alu instid0(VALU_DEP_2) | instskip(SKIP_1) | instid1(SALU_CYCLE_1)
	v_cmp_lt_i32_e32 vcc_lo, v7, v11
	s_and_b32 s22, vcc_lo, exec_lo
	s_or_b32 s20, s20, s22
.LBB20_6:                               ;   in Loop: Header=BB20_7 Depth=1
	s_or_b32 exec_lo, exec_lo, s21
	s_delay_alu instid0(SALU_CYCLE_1) | instskip(NEXT) | instid1(SALU_CYCLE_1)
	s_and_b32 s21, exec_lo, s20
	s_or_b32 s18, s21, s18
	s_and_not1_b32 s13, s13, exec_lo
	s_and_b32 s21, s19, exec_lo
	s_delay_alu instid0(SALU_CYCLE_1)
	s_or_b32 s13, s13, s21
	s_and_not1_b32 exec_lo, exec_lo, s18
	s_cbranch_execz .LBB20_12
.LBB20_7:                               ; =>This Loop Header: Depth=1
                                        ;     Child Loop BB20_10 Depth 2
	s_wait_kmcnt 0x0
	global_load_b64 v[4:5], v7, s[0:1] scale_offset th:TH_LOAD_NT
	v_dual_mov_b32 v13, v7 :: v_dual_mov_b32 v12, v6
	s_or_b32 s19, s19, exec_lo
	s_or_b32 s20, s20, exec_lo
	s_mov_b32 s21, exec_lo
                                        ; implicit-def: $vgpr7
                                        ; implicit-def: $vgpr6
	s_wait_loadcnt 0x0
	v_sub_nc_u64_e64 v[4:5], v[4:5], s[16:17]
	s_wait_xcnt 0x0
	s_delay_alu instid0(VALU_DEP_1)
	v_cmpx_lt_i64_e64 s[14:15], v[4:5]
	s_cbranch_execz .LBB20_6
; %bb.8:                                ;   in Loop: Header=BB20_7 Depth=1
	v_lshl_add_u64 v[6:7], v[4:5], 2, s[4:5]
	s_mov_b32 s22, exec_lo
	global_load_b32 v14, v[6:7], off scope:SCOPE_DEV
	s_wait_loadcnt 0x0
	v_cmpx_eq_u32_e32 0, v14
	s_cbranch_execz .LBB20_5
; %bb.9:                                ;   in Loop: Header=BB20_7 Depth=1
	s_mov_b32 s23, 0
.LBB20_10:                              ;   Parent Loop BB20_7 Depth=1
                                        ; =>  This Inner Loop Header: Depth=2
	global_load_b32 v14, v[6:7], off scope:SCOPE_DEV
	s_wait_loadcnt 0x0
	v_cmp_ne_u32_e32 vcc_lo, 0, v14
	s_or_b32 s23, vcc_lo, s23
	s_wait_xcnt 0x0
	s_and_not1_b32 exec_lo, exec_lo, s23
	s_cbranch_execnz .LBB20_10
; %bb.11:                               ;   in Loop: Header=BB20_7 Depth=1
	s_or_b32 exec_lo, exec_lo, s23
	s_branch .LBB20_5
.LBB20_12:
	s_or_b32 exec_lo, exec_lo, s18
	s_and_saveexec_b32 s0, s13
	s_delay_alu instid0(SALU_CYCLE_1)
	s_xor_b32 s0, exec_lo, s0
	s_cbranch_execz .LBB20_21
; %bb.13:
	s_mov_b32 s1, exec_lo
	v_cmpx_eq_u64_e64 v[4:5], v[2:3]
	s_cbranch_execz .LBB20_15
; %bb.14:
	global_store_b32 v[0:1], v13, off
.LBB20_15:
	s_wait_xcnt 0x0
	s_or_b32 exec_lo, exec_lo, s1
	s_delay_alu instid0(SALU_CYCLE_1)
	s_mov_b32 s1, exec_lo
	v_cmpx_gt_i64_e64 v[4:5], v[2:3]
	s_cbranch_execz .LBB20_20
; %bb.16:
	s_xor_b32 s12, s12, 0x3fffffe0
	s_delay_alu instid0(SALU_CYCLE_1) | instskip(SKIP_3) | instid1(VALU_DEP_1)
	s_add_co_i32 s2, s2, s12
	s_mov_b32 s12, 0
	v_sub_nc_u32_e32 v4, s2, v4
	s_mov_b32 s2, exec_lo
	v_lshlrev_b32_e32 v5, 2, v4
	ds_load_b32 v4, v5 offset:124
	s_wait_dscnt 0x0
	v_cmpx_eq_u32_e32 0, v4
	s_cbranch_execz .LBB20_19
.LBB20_17:                              ; =>This Inner Loop Header: Depth=1
	ds_load_b32 v4, v5 offset:124
	s_wait_dscnt 0x0
	v_cmp_ne_u32_e32 vcc_lo, 0, v4
	s_or_b32 s12, vcc_lo, s12
	s_delay_alu instid0(SALU_CYCLE_1)
	s_and_not1_b32 exec_lo, exec_lo, s12
	s_cbranch_execnz .LBB20_17
; %bb.18:
	s_or_b32 exec_lo, exec_lo, s12
.LBB20_19:
	s_delay_alu instid0(SALU_CYCLE_1)
	s_or_b32 exec_lo, exec_lo, s2
	v_max_i32_e32 v12, v4, v12
.LBB20_20:
	s_or_b32 exec_lo, exec_lo, s1
	s_delay_alu instid0(VALU_DEP_1)
	v_mov_b32_e32 v6, v12
.LBB20_21:
	s_or_b32 exec_lo, exec_lo, s0
.LBB20_22:
	s_delay_alu instid0(SALU_CYCLE_1) | instskip(SKIP_2) | instid1(VALU_DEP_1)
	s_or_b32 exec_lo, exec_lo, s3
	v_mbcnt_lo_u32_b32 v4, -1, 0
	s_wait_storecnt 0x0
	v_xor_b32_e32 v7, 8, v4
	v_xor_b32_e32 v5, 16, v4
	s_delay_alu instid0(VALU_DEP_1) | instskip(SKIP_1) | instid1(VALU_DEP_4)
	v_cmp_gt_i32_e32 vcc_lo, 32, v5
	v_cndmask_b32_e32 v5, v4, v5, vcc_lo
	v_cmp_gt_i32_e32 vcc_lo, 32, v7
	v_cndmask_b32_e32 v7, v4, v7, vcc_lo
	s_delay_alu instid0(VALU_DEP_1)
	v_dual_lshlrev_b32 v7, 2, v7 :: v_dual_lshlrev_b32 v5, 2, v5
	ds_bpermute_b32 v5, v5, v6
	s_wait_dscnt 0x0
	v_max_i32_e32 v5, v6, v5
	ds_bpermute_b32 v6, v7, v5
	v_xor_b32_e32 v7, 4, v4
	s_delay_alu instid0(VALU_DEP_1) | instskip(SKIP_2) | instid1(VALU_DEP_1)
	v_cmp_gt_i32_e32 vcc_lo, 32, v7
	v_cndmask_b32_e32 v7, v4, v7, vcc_lo
	s_wait_dscnt 0x0
	v_dual_lshlrev_b32 v7, 2, v7 :: v_dual_max_i32 v5, v5, v6
	ds_bpermute_b32 v6, v7, v5
	v_xor_b32_e32 v7, 2, v4
	s_delay_alu instid0(VALU_DEP_1) | instskip(SKIP_2) | instid1(VALU_DEP_1)
	v_cmp_gt_i32_e32 vcc_lo, 32, v7
	s_wait_dscnt 0x0
	v_dual_cndmask_b32 v7, v4, v7, vcc_lo :: v_dual_max_i32 v5, v5, v6
	v_lshlrev_b32_e32 v7, 2, v7
	ds_bpermute_b32 v6, v7, v5
	v_xor_b32_e32 v7, 1, v4
	s_delay_alu instid0(VALU_DEP_1) | instskip(SKIP_3) | instid1(VALU_DEP_2)
	v_cmp_gt_i32_e32 vcc_lo, 32, v7
	v_cndmask_b32_e32 v7, v4, v7, vcc_lo
	v_cmp_eq_u32_e32 vcc_lo, 31, v9
	s_wait_dscnt 0x0
	v_dual_lshlrev_b32 v5, 2, v7 :: v_dual_max_i32 v4, v5, v6
	ds_bpermute_b32 v5, v5, v4
	s_and_b32 exec_lo, exec_lo, vcc_lo
	s_cbranch_execz .LBB20_32
; %bb.23:
	s_wait_dscnt 0x0
	v_max_i32_e32 v4, v4, v5
	v_lshl_add_u64 v[6:7], v[2:3], 2, s[4:5]
	s_mov_b32 s1, exec_lo
	s_brev_b32 s0, 1
	s_delay_alu instid0(VALU_DEP_2)
	v_dual_add_nc_u32 v5, 1, v4 :: v_dual_sub_nc_u32 v4, v10, v11
	ds_store_b32 v8, v5
	global_store_b32 v[6:7], v5, off scope:SCOPE_DEV
.LBB20_24:                              ; =>This Inner Loop Header: Depth=1
	s_ctz_i32_b32 s2, s1
	s_delay_alu instid0(SALU_CYCLE_1) | instskip(SKIP_1) | instid1(SALU_CYCLE_1)
	v_readlane_b32 s3, v4, s2
	s_lshl_b32 s2, 1, s2
	s_and_not1_b32 s1, s1, s2
	s_max_i32 s0, s0, s3
	s_cmp_lg_u32 s1, 0
	s_cbranch_scc1 .LBB20_24
; %bb.25:
	v_mbcnt_lo_u32_b32 v4, exec_lo, 0
	s_mov_b32 s1, exec_lo
	s_wait_xcnt 0x0
	s_delay_alu instid0(VALU_DEP_1)
	v_cmpx_eq_u32_e32 0, v4
	s_xor_b32 s1, exec_lo, s1
	s_cbranch_execz .LBB20_27
; %bb.26:
	v_dual_mov_b32 v4, 0 :: v_dual_mov_b32 v5, s0
	global_atomic_max_i32 v4, v5, s[6:7] scope:SCOPE_DEV
.LBB20_27:
	s_wait_xcnt 0x0
	s_or_b32 exec_lo, exec_lo, s1
	global_load_b32 v0, v[0:1], off
	s_cmp_eq_u32 s11, 0
	s_cselect_b32 s0, -1, 0
	s_wait_loadcnt 0x0
	v_cmp_eq_u32_e32 vcc_lo, -1, v0
	s_and_b32 s0, s0, vcc_lo
	s_wait_xcnt 0x0
	s_and_b32 exec_lo, exec_lo, s0
	s_cbranch_execz .LBB20_32
; %bb.28:
	s_mov_b32 s11, 0
	v_mov_b64_e32 v[0:1], -1
	v_add_nc_u64_e32 v[2:3], s[10:11], v[2:3]
	s_mov_b32 s0, exec_lo
.LBB20_29:                              ; =>This Inner Loop Header: Depth=1
	s_delay_alu instid0(SALU_CYCLE_1)
	s_ctz_i32_b32 s1, s0
	s_delay_alu instid0(VALU_DEP_1) | instid1(SALU_CYCLE_1)
	v_readlane_b32 s3, v3, s1
	s_delay_alu instid0(VALU_DEP_2) | instskip(SKIP_1) | instid1(SALU_CYCLE_1)
	v_readlane_b32 s2, v2, s1
	s_lshl_b32 s1, 1, s1
	s_and_not1_b32 s0, s0, s1
	v_min_u64 v[0:1], v[0:1], s[2:3]
	s_cmp_lg_u32 s0, 0
	s_cbranch_scc1 .LBB20_29
; %bb.30:
	v_mbcnt_lo_u32_b32 v2, exec_lo, 0
	s_mov_b32 s0, exec_lo
	s_delay_alu instid0(VALU_DEP_1)
	v_cmpx_eq_u32_e32 0, v2
	s_xor_b32 s0, exec_lo, s0
	s_cbranch_execz .LBB20_32
; %bb.31:
	v_mov_b32_e32 v2, 0
	global_atomic_min_u64 v2, v[0:1], s[8:9] scope:SCOPE_DEV
.LBB20_32:
	s_endpgm
	.section	.rodata,"a",@progbits
	.p2align	6, 0x0
	.amdhsa_kernel _ZN9rocsparseL27csrsv_analysis_upper_kernelILj1024ELj32ELb0EilEEvT3_PKT2_PKS1_PS2_PiS7_PS1_21rocsparse_index_base_20rocsparse_diag_type_
		.amdhsa_group_segment_fixed_size 128
		.amdhsa_private_segment_fixed_size 0
		.amdhsa_kernarg_size 64
		.amdhsa_user_sgpr_count 2
		.amdhsa_user_sgpr_dispatch_ptr 0
		.amdhsa_user_sgpr_queue_ptr 0
		.amdhsa_user_sgpr_kernarg_segment_ptr 1
		.amdhsa_user_sgpr_dispatch_id 0
		.amdhsa_user_sgpr_kernarg_preload_length 0
		.amdhsa_user_sgpr_kernarg_preload_offset 0
		.amdhsa_user_sgpr_private_segment_size 0
		.amdhsa_wavefront_size32 1
		.amdhsa_uses_dynamic_stack 0
		.amdhsa_enable_private_segment 0
		.amdhsa_system_sgpr_workgroup_id_x 1
		.amdhsa_system_sgpr_workgroup_id_y 0
		.amdhsa_system_sgpr_workgroup_id_z 0
		.amdhsa_system_sgpr_workgroup_info 0
		.amdhsa_system_vgpr_workitem_id 0
		.amdhsa_next_free_vgpr 15
		.amdhsa_next_free_sgpr 24
		.amdhsa_named_barrier_count 0
		.amdhsa_reserve_vcc 1
		.amdhsa_float_round_mode_32 0
		.amdhsa_float_round_mode_16_64 0
		.amdhsa_float_denorm_mode_32 3
		.amdhsa_float_denorm_mode_16_64 3
		.amdhsa_fp16_overflow 0
		.amdhsa_memory_ordered 1
		.amdhsa_forward_progress 1
		.amdhsa_inst_pref_size 10
		.amdhsa_round_robin_scheduling 0
		.amdhsa_exception_fp_ieee_invalid_op 0
		.amdhsa_exception_fp_denorm_src 0
		.amdhsa_exception_fp_ieee_div_zero 0
		.amdhsa_exception_fp_ieee_overflow 0
		.amdhsa_exception_fp_ieee_underflow 0
		.amdhsa_exception_fp_ieee_inexact 0
		.amdhsa_exception_int_div_zero 0
	.end_amdhsa_kernel
	.section	.text._ZN9rocsparseL27csrsv_analysis_upper_kernelILj1024ELj32ELb0EilEEvT3_PKT2_PKS1_PS2_PiS7_PS1_21rocsparse_index_base_20rocsparse_diag_type_,"axG",@progbits,_ZN9rocsparseL27csrsv_analysis_upper_kernelILj1024ELj32ELb0EilEEvT3_PKT2_PKS1_PS2_PiS7_PS1_21rocsparse_index_base_20rocsparse_diag_type_,comdat
.Lfunc_end20:
	.size	_ZN9rocsparseL27csrsv_analysis_upper_kernelILj1024ELj32ELb0EilEEvT3_PKT2_PKS1_PS2_PiS7_PS1_21rocsparse_index_base_20rocsparse_diag_type_, .Lfunc_end20-_ZN9rocsparseL27csrsv_analysis_upper_kernelILj1024ELj32ELb0EilEEvT3_PKT2_PKS1_PS2_PiS7_PS1_21rocsparse_index_base_20rocsparse_diag_type_
                                        ; -- End function
	.set _ZN9rocsparseL27csrsv_analysis_upper_kernelILj1024ELj32ELb0EilEEvT3_PKT2_PKS1_PS2_PiS7_PS1_21rocsparse_index_base_20rocsparse_diag_type_.num_vgpr, 15
	.set _ZN9rocsparseL27csrsv_analysis_upper_kernelILj1024ELj32ELb0EilEEvT3_PKT2_PKS1_PS2_PiS7_PS1_21rocsparse_index_base_20rocsparse_diag_type_.num_agpr, 0
	.set _ZN9rocsparseL27csrsv_analysis_upper_kernelILj1024ELj32ELb0EilEEvT3_PKT2_PKS1_PS2_PiS7_PS1_21rocsparse_index_base_20rocsparse_diag_type_.numbered_sgpr, 24
	.set _ZN9rocsparseL27csrsv_analysis_upper_kernelILj1024ELj32ELb0EilEEvT3_PKT2_PKS1_PS2_PiS7_PS1_21rocsparse_index_base_20rocsparse_diag_type_.num_named_barrier, 0
	.set _ZN9rocsparseL27csrsv_analysis_upper_kernelILj1024ELj32ELb0EilEEvT3_PKT2_PKS1_PS2_PiS7_PS1_21rocsparse_index_base_20rocsparse_diag_type_.private_seg_size, 0
	.set _ZN9rocsparseL27csrsv_analysis_upper_kernelILj1024ELj32ELb0EilEEvT3_PKT2_PKS1_PS2_PiS7_PS1_21rocsparse_index_base_20rocsparse_diag_type_.uses_vcc, 1
	.set _ZN9rocsparseL27csrsv_analysis_upper_kernelILj1024ELj32ELb0EilEEvT3_PKT2_PKS1_PS2_PiS7_PS1_21rocsparse_index_base_20rocsparse_diag_type_.uses_flat_scratch, 0
	.set _ZN9rocsparseL27csrsv_analysis_upper_kernelILj1024ELj32ELb0EilEEvT3_PKT2_PKS1_PS2_PiS7_PS1_21rocsparse_index_base_20rocsparse_diag_type_.has_dyn_sized_stack, 0
	.set _ZN9rocsparseL27csrsv_analysis_upper_kernelILj1024ELj32ELb0EilEEvT3_PKT2_PKS1_PS2_PiS7_PS1_21rocsparse_index_base_20rocsparse_diag_type_.has_recursion, 0
	.set _ZN9rocsparseL27csrsv_analysis_upper_kernelILj1024ELj32ELb0EilEEvT3_PKT2_PKS1_PS2_PiS7_PS1_21rocsparse_index_base_20rocsparse_diag_type_.has_indirect_call, 0
	.section	.AMDGPU.csdata,"",@progbits
; Kernel info:
; codeLenInByte = 1264
; TotalNumSgprs: 26
; NumVgprs: 15
; ScratchSize: 0
; MemoryBound: 0
; FloatMode: 240
; IeeeMode: 1
; LDSByteSize: 128 bytes/workgroup (compile time only)
; SGPRBlocks: 0
; VGPRBlocks: 0
; NumSGPRsForWavesPerEU: 26
; NumVGPRsForWavesPerEU: 15
; NamedBarCnt: 0
; Occupancy: 16
; WaveLimiterHint : 1
; COMPUTE_PGM_RSRC2:SCRATCH_EN: 0
; COMPUTE_PGM_RSRC2:USER_SGPR: 2
; COMPUTE_PGM_RSRC2:TRAP_HANDLER: 0
; COMPUTE_PGM_RSRC2:TGID_X_EN: 1
; COMPUTE_PGM_RSRC2:TGID_Y_EN: 0
; COMPUTE_PGM_RSRC2:TGID_Z_EN: 0
; COMPUTE_PGM_RSRC2:TIDIG_COMP_CNT: 0
	.section	.text._ZN9rocsparseL27csrsv_analysis_lower_kernelILj1024ELj32ELb0EilEEvT3_PKT2_PKS1_PS2_PiS7_PS1_21rocsparse_index_base_20rocsparse_diag_type_,"axG",@progbits,_ZN9rocsparseL27csrsv_analysis_lower_kernelILj1024ELj32ELb0EilEEvT3_PKT2_PKS1_PS2_PiS7_PS1_21rocsparse_index_base_20rocsparse_diag_type_,comdat
	.globl	_ZN9rocsparseL27csrsv_analysis_lower_kernelILj1024ELj32ELb0EilEEvT3_PKT2_PKS1_PS2_PiS7_PS1_21rocsparse_index_base_20rocsparse_diag_type_ ; -- Begin function _ZN9rocsparseL27csrsv_analysis_lower_kernelILj1024ELj32ELb0EilEEvT3_PKT2_PKS1_PS2_PiS7_PS1_21rocsparse_index_base_20rocsparse_diag_type_
	.p2align	8
	.type	_ZN9rocsparseL27csrsv_analysis_lower_kernelILj1024ELj32ELb0EilEEvT3_PKT2_PKS1_PS2_PiS7_PS1_21rocsparse_index_base_20rocsparse_diag_type_,@function
_ZN9rocsparseL27csrsv_analysis_lower_kernelILj1024ELj32ELb0EilEEvT3_PKT2_PKS1_PS2_PiS7_PS1_21rocsparse_index_base_20rocsparse_diag_type_: ; @_ZN9rocsparseL27csrsv_analysis_lower_kernelILj1024ELj32ELb0EilEEvT3_PKT2_PKS1_PS2_PiS7_PS1_21rocsparse_index_base_20rocsparse_diag_type_
; %bb.0:
	s_load_b64 s[4:5], s[0:1], 0x0
	s_bfe_u32 s2, ttmp6, 0x4000c
	s_and_b32 s3, ttmp6, 15
	s_add_co_i32 s2, s2, 1
	s_getreg_b32 s6, hwreg(HW_REG_IB_STS2, 6, 4)
	s_mul_i32 s2, ttmp9, s2
	v_dual_lshrrev_b32 v1, 5, v0 :: v_dual_mov_b32 v3, 0
	s_add_co_i32 s3, s3, s2
	s_cmp_eq_u32 s6, 0
	s_cselect_b32 s2, ttmp9, s3
	s_mov_b32 s3, exec_lo
	s_lshl_b32 s2, s2, 5
	s_delay_alu instid0(SALU_CYCLE_1)
	v_dual_lshlrev_b32 v8, 2, v1 :: v_dual_bitop2_b32 v2, s2, v1 bitop3:0x54
	ds_store_b32 v8, v3
	s_wait_dscnt 0x0
	s_barrier_signal -1
	s_barrier_wait -1
	s_wait_kmcnt 0x0
	v_cmpx_gt_i64_e64 s[4:5], v[2:3]
	s_cbranch_execz .LBB21_32
; %bb.1:
	s_clause 0x1
	s_load_b64 s[6:7], s[0:1], 0x18
	s_load_b64 s[4:5], s[0:1], 0x8
	v_and_b32_e32 v9, 31, v0
	s_mov_b32 s3, exec_lo
	s_wait_kmcnt 0x0
	v_lshl_add_u64 v[0:1], v[2:3], 2, s[6:7]
	s_delay_alu instid0(VALU_DEP_2)
	v_cmpx_eq_u32_e32 0, v9
	s_cbranch_execz .LBB21_3
; %bb.2:
	v_mov_b32_e32 v4, -1
	global_store_b32 v[0:1], v4, off
.LBB21_3:
	s_wait_xcnt 0x0
	s_or_b32 exec_lo, exec_lo, s3
	v_lshl_add_u64 v[4:5], v[2:3], 2, s[4:5]
	s_load_b256 s[4:11], s[0:1], 0x20
	s_mov_b32 s14, exec_lo
	v_mov_b32_e32 v6, 0
	global_load_b64 v[4:5], v[4:5], off
	s_wait_loadcnt 0x0
	s_wait_kmcnt 0x0
	v_subrev_nc_u32_e32 v10, s10, v4
	v_subrev_nc_u32_e32 v11, s10, v5
	s_delay_alu instid0(VALU_DEP_2) | instskip(SKIP_1) | instid1(VALU_DEP_1)
	v_add_nc_u32_e32 v7, v10, v9
	s_wait_xcnt 0x0
	v_cmpx_lt_i32_e64 v7, v11
	s_cbranch_execz .LBB21_22
; %bb.4:
	s_load_b64 s[0:1], s[0:1], 0x10
	v_mov_b32_e32 v6, 0
	s_mov_b32 s3, 0
	s_mov_b32 s12, s10
	;; [unrolled: 1-line block ×4, first 2 shown]
                                        ; implicit-def: $sgpr15
                                        ; implicit-def: $sgpr18
                                        ; implicit-def: $sgpr17
	s_branch .LBB21_7
.LBB21_5:                               ;   in Loop: Header=BB21_7 Depth=1
	s_or_b32 exec_lo, exec_lo, s20
	v_dual_add_nc_u32 v7, 32, v13 :: v_dual_max_i32 v6, v14, v12
	s_and_not1_b32 s18, s18, exec_lo
	s_and_not1_b32 s17, s17, exec_lo
	s_delay_alu instid0(VALU_DEP_1) | instskip(SKIP_1) | instid1(SALU_CYCLE_1)
	v_cmp_ge_i32_e32 vcc_lo, v7, v11
	s_and_b32 s20, vcc_lo, exec_lo
	s_or_b32 s18, s18, s20
.LBB21_6:                               ;   in Loop: Header=BB21_7 Depth=1
	s_or_b32 exec_lo, exec_lo, s19
	s_delay_alu instid0(SALU_CYCLE_1) | instskip(NEXT) | instid1(SALU_CYCLE_1)
	s_and_b32 s19, exec_lo, s18
	s_or_b32 s16, s19, s16
	s_and_not1_b32 s15, s15, exec_lo
	s_and_b32 s19, s17, exec_lo
	s_delay_alu instid0(SALU_CYCLE_1)
	s_or_b32 s15, s15, s19
	s_and_not1_b32 exec_lo, exec_lo, s16
	s_cbranch_execz .LBB21_12
.LBB21_7:                               ; =>This Loop Header: Depth=1
                                        ;     Child Loop BB21_10 Depth 2
	s_wait_kmcnt 0x0
	global_load_b64 v[4:5], v7, s[0:1] scale_offset th:TH_LOAD_NT
	v_dual_mov_b32 v13, v7 :: v_dual_mov_b32 v12, v6
	s_or_b32 s17, s17, exec_lo
	s_or_b32 s18, s18, exec_lo
	s_mov_b32 s19, exec_lo
                                        ; implicit-def: $vgpr7
                                        ; implicit-def: $vgpr6
	s_wait_loadcnt 0x0
	v_sub_nc_u64_e64 v[4:5], v[4:5], s[12:13]
	s_wait_xcnt 0x0
	s_delay_alu instid0(VALU_DEP_1)
	v_cmpx_gt_i64_e64 s[2:3], v[4:5]
	s_cbranch_execz .LBB21_6
; %bb.8:                                ;   in Loop: Header=BB21_7 Depth=1
	v_lshl_add_u64 v[6:7], v[4:5], 2, s[4:5]
	s_mov_b32 s20, exec_lo
	global_load_b32 v14, v[6:7], off scope:SCOPE_DEV
	s_wait_loadcnt 0x0
	v_cmpx_eq_u32_e32 0, v14
	s_cbranch_execz .LBB21_5
; %bb.9:                                ;   in Loop: Header=BB21_7 Depth=1
	s_mov_b32 s21, 0
.LBB21_10:                              ;   Parent Loop BB21_7 Depth=1
                                        ; =>  This Inner Loop Header: Depth=2
	global_load_b32 v14, v[6:7], off scope:SCOPE_DEV
	s_wait_loadcnt 0x0
	v_cmp_ne_u32_e32 vcc_lo, 0, v14
	s_or_b32 s21, vcc_lo, s21
	s_wait_xcnt 0x0
	s_and_not1_b32 exec_lo, exec_lo, s21
	s_cbranch_execnz .LBB21_10
; %bb.11:                               ;   in Loop: Header=BB21_7 Depth=1
	s_or_b32 exec_lo, exec_lo, s21
	s_branch .LBB21_5
.LBB21_12:
	s_or_b32 exec_lo, exec_lo, s16
	s_and_saveexec_b32 s0, s15
	s_delay_alu instid0(SALU_CYCLE_1)
	s_xor_b32 s0, exec_lo, s0
	s_cbranch_execz .LBB21_21
; %bb.13:
	s_mov_b32 s1, exec_lo
	v_cmpx_eq_u64_e64 v[4:5], v[2:3]
	s_cbranch_execz .LBB21_15
; %bb.14:
	global_store_b32 v[0:1], v13, off
.LBB21_15:
	s_wait_xcnt 0x0
	s_or_b32 exec_lo, exec_lo, s1
	s_delay_alu instid0(SALU_CYCLE_1)
	s_mov_b32 s1, exec_lo
	v_cmpx_lt_i64_e64 v[4:5], v[2:3]
	s_cbranch_execz .LBB21_20
; %bb.16:
	v_subrev_nc_u32_e32 v4, s2, v4
	s_mov_b32 s3, 0
	s_mov_b32 s2, exec_lo
	s_delay_alu instid0(VALU_DEP_1)
	v_lshlrev_b32_e32 v5, 2, v4
	ds_load_b32 v4, v5
	s_wait_dscnt 0x0
	v_cmpx_eq_u32_e32 0, v4
	s_cbranch_execz .LBB21_19
.LBB21_17:                              ; =>This Inner Loop Header: Depth=1
	ds_load_b32 v4, v5
	s_wait_dscnt 0x0
	v_cmp_ne_u32_e32 vcc_lo, 0, v4
	s_or_b32 s3, vcc_lo, s3
	s_delay_alu instid0(SALU_CYCLE_1)
	s_and_not1_b32 exec_lo, exec_lo, s3
	s_cbranch_execnz .LBB21_17
; %bb.18:
	s_or_b32 exec_lo, exec_lo, s3
.LBB21_19:
	s_delay_alu instid0(SALU_CYCLE_1)
	s_or_b32 exec_lo, exec_lo, s2
	v_max_i32_e32 v12, v4, v12
.LBB21_20:
	s_or_b32 exec_lo, exec_lo, s1
	s_delay_alu instid0(VALU_DEP_1)
	v_mov_b32_e32 v6, v12
.LBB21_21:
	s_or_b32 exec_lo, exec_lo, s0
.LBB21_22:
	s_delay_alu instid0(SALU_CYCLE_1) | instskip(SKIP_2) | instid1(VALU_DEP_1)
	s_or_b32 exec_lo, exec_lo, s14
	v_mbcnt_lo_u32_b32 v4, -1, 0
	s_wait_storecnt 0x0
	v_xor_b32_e32 v7, 8, v4
	v_xor_b32_e32 v5, 16, v4
	s_delay_alu instid0(VALU_DEP_1) | instskip(SKIP_1) | instid1(VALU_DEP_4)
	v_cmp_gt_i32_e32 vcc_lo, 32, v5
	v_cndmask_b32_e32 v5, v4, v5, vcc_lo
	v_cmp_gt_i32_e32 vcc_lo, 32, v7
	v_cndmask_b32_e32 v7, v4, v7, vcc_lo
	s_delay_alu instid0(VALU_DEP_1)
	v_dual_lshlrev_b32 v7, 2, v7 :: v_dual_lshlrev_b32 v5, 2, v5
	ds_bpermute_b32 v5, v5, v6
	s_wait_dscnt 0x0
	v_max_i32_e32 v5, v6, v5
	ds_bpermute_b32 v6, v7, v5
	v_xor_b32_e32 v7, 4, v4
	s_delay_alu instid0(VALU_DEP_1) | instskip(SKIP_2) | instid1(VALU_DEP_1)
	v_cmp_gt_i32_e32 vcc_lo, 32, v7
	v_cndmask_b32_e32 v7, v4, v7, vcc_lo
	s_wait_dscnt 0x0
	v_dual_lshlrev_b32 v7, 2, v7 :: v_dual_max_i32 v5, v5, v6
	ds_bpermute_b32 v6, v7, v5
	v_xor_b32_e32 v7, 2, v4
	s_delay_alu instid0(VALU_DEP_1) | instskip(SKIP_2) | instid1(VALU_DEP_1)
	v_cmp_gt_i32_e32 vcc_lo, 32, v7
	s_wait_dscnt 0x0
	v_dual_cndmask_b32 v7, v4, v7, vcc_lo :: v_dual_max_i32 v5, v5, v6
	v_lshlrev_b32_e32 v7, 2, v7
	ds_bpermute_b32 v6, v7, v5
	v_xor_b32_e32 v7, 1, v4
	s_delay_alu instid0(VALU_DEP_1) | instskip(SKIP_3) | instid1(VALU_DEP_2)
	v_cmp_gt_i32_e32 vcc_lo, 32, v7
	v_cndmask_b32_e32 v7, v4, v7, vcc_lo
	v_cmp_eq_u32_e32 vcc_lo, 31, v9
	s_wait_dscnt 0x0
	v_dual_lshlrev_b32 v5, 2, v7 :: v_dual_max_i32 v4, v5, v6
	ds_bpermute_b32 v5, v5, v4
	s_and_b32 exec_lo, exec_lo, vcc_lo
	s_cbranch_execz .LBB21_32
; %bb.23:
	s_wait_dscnt 0x0
	v_max_i32_e32 v4, v4, v5
	v_lshl_add_u64 v[6:7], v[2:3], 2, s[4:5]
	s_mov_b32 s1, exec_lo
	s_brev_b32 s0, 1
	s_delay_alu instid0(VALU_DEP_2)
	v_dual_add_nc_u32 v5, 1, v4 :: v_dual_sub_nc_u32 v4, v11, v10
	ds_store_b32 v8, v5
	global_store_b32 v[6:7], v5, off scope:SCOPE_DEV
.LBB21_24:                              ; =>This Inner Loop Header: Depth=1
	s_ctz_i32_b32 s2, s1
	s_delay_alu instid0(SALU_CYCLE_1) | instskip(SKIP_1) | instid1(SALU_CYCLE_1)
	v_readlane_b32 s3, v4, s2
	s_lshl_b32 s2, 1, s2
	s_and_not1_b32 s1, s1, s2
	s_max_i32 s0, s0, s3
	s_cmp_lg_u32 s1, 0
	s_cbranch_scc1 .LBB21_24
; %bb.25:
	v_mbcnt_lo_u32_b32 v4, exec_lo, 0
	s_mov_b32 s1, exec_lo
	s_wait_xcnt 0x0
	s_delay_alu instid0(VALU_DEP_1)
	v_cmpx_eq_u32_e32 0, v4
	s_xor_b32 s1, exec_lo, s1
	s_cbranch_execz .LBB21_27
; %bb.26:
	v_dual_mov_b32 v4, 0 :: v_dual_mov_b32 v5, s0
	global_atomic_max_i32 v4, v5, s[6:7] scope:SCOPE_DEV
.LBB21_27:
	s_wait_xcnt 0x0
	s_or_b32 exec_lo, exec_lo, s1
	global_load_b32 v0, v[0:1], off
	s_cmp_eq_u32 s11, 0
	s_cselect_b32 s0, -1, 0
	s_wait_loadcnt 0x0
	v_cmp_eq_u32_e32 vcc_lo, -1, v0
	s_and_b32 s0, s0, vcc_lo
	s_wait_xcnt 0x0
	s_and_b32 exec_lo, exec_lo, s0
	s_cbranch_execz .LBB21_32
; %bb.28:
	s_mov_b32 s11, 0
	v_mov_b64_e32 v[0:1], -1
	v_add_nc_u64_e32 v[2:3], s[10:11], v[2:3]
	s_mov_b32 s0, exec_lo
.LBB21_29:                              ; =>This Inner Loop Header: Depth=1
	s_delay_alu instid0(SALU_CYCLE_1)
	s_ctz_i32_b32 s1, s0
	s_delay_alu instid0(VALU_DEP_1) | instid1(SALU_CYCLE_1)
	v_readlane_b32 s3, v3, s1
	s_delay_alu instid0(VALU_DEP_2) | instskip(SKIP_1) | instid1(SALU_CYCLE_1)
	v_readlane_b32 s2, v2, s1
	s_lshl_b32 s1, 1, s1
	s_and_not1_b32 s0, s0, s1
	v_min_u64 v[0:1], v[0:1], s[2:3]
	s_cmp_lg_u32 s0, 0
	s_cbranch_scc1 .LBB21_29
; %bb.30:
	v_mbcnt_lo_u32_b32 v2, exec_lo, 0
	s_mov_b32 s0, exec_lo
	s_delay_alu instid0(VALU_DEP_1)
	v_cmpx_eq_u32_e32 0, v2
	s_xor_b32 s0, exec_lo, s0
	s_cbranch_execz .LBB21_32
; %bb.31:
	v_mov_b32_e32 v2, 0
	global_atomic_min_u64 v2, v[0:1], s[8:9] scope:SCOPE_DEV
.LBB21_32:
	s_endpgm
	.section	.rodata,"a",@progbits
	.p2align	6, 0x0
	.amdhsa_kernel _ZN9rocsparseL27csrsv_analysis_lower_kernelILj1024ELj32ELb0EilEEvT3_PKT2_PKS1_PS2_PiS7_PS1_21rocsparse_index_base_20rocsparse_diag_type_
		.amdhsa_group_segment_fixed_size 128
		.amdhsa_private_segment_fixed_size 0
		.amdhsa_kernarg_size 64
		.amdhsa_user_sgpr_count 2
		.amdhsa_user_sgpr_dispatch_ptr 0
		.amdhsa_user_sgpr_queue_ptr 0
		.amdhsa_user_sgpr_kernarg_segment_ptr 1
		.amdhsa_user_sgpr_dispatch_id 0
		.amdhsa_user_sgpr_kernarg_preload_length 0
		.amdhsa_user_sgpr_kernarg_preload_offset 0
		.amdhsa_user_sgpr_private_segment_size 0
		.amdhsa_wavefront_size32 1
		.amdhsa_uses_dynamic_stack 0
		.amdhsa_enable_private_segment 0
		.amdhsa_system_sgpr_workgroup_id_x 1
		.amdhsa_system_sgpr_workgroup_id_y 0
		.amdhsa_system_sgpr_workgroup_id_z 0
		.amdhsa_system_sgpr_workgroup_info 0
		.amdhsa_system_vgpr_workitem_id 0
		.amdhsa_next_free_vgpr 15
		.amdhsa_next_free_sgpr 22
		.amdhsa_named_barrier_count 0
		.amdhsa_reserve_vcc 1
		.amdhsa_float_round_mode_32 0
		.amdhsa_float_round_mode_16_64 0
		.amdhsa_float_denorm_mode_32 3
		.amdhsa_float_denorm_mode_16_64 3
		.amdhsa_fp16_overflow 0
		.amdhsa_memory_ordered 1
		.amdhsa_forward_progress 1
		.amdhsa_inst_pref_size 10
		.amdhsa_round_robin_scheduling 0
		.amdhsa_exception_fp_ieee_invalid_op 0
		.amdhsa_exception_fp_denorm_src 0
		.amdhsa_exception_fp_ieee_div_zero 0
		.amdhsa_exception_fp_ieee_overflow 0
		.amdhsa_exception_fp_ieee_underflow 0
		.amdhsa_exception_fp_ieee_inexact 0
		.amdhsa_exception_int_div_zero 0
	.end_amdhsa_kernel
	.section	.text._ZN9rocsparseL27csrsv_analysis_lower_kernelILj1024ELj32ELb0EilEEvT3_PKT2_PKS1_PS2_PiS7_PS1_21rocsparse_index_base_20rocsparse_diag_type_,"axG",@progbits,_ZN9rocsparseL27csrsv_analysis_lower_kernelILj1024ELj32ELb0EilEEvT3_PKT2_PKS1_PS2_PiS7_PS1_21rocsparse_index_base_20rocsparse_diag_type_,comdat
.Lfunc_end21:
	.size	_ZN9rocsparseL27csrsv_analysis_lower_kernelILj1024ELj32ELb0EilEEvT3_PKT2_PKS1_PS2_PiS7_PS1_21rocsparse_index_base_20rocsparse_diag_type_, .Lfunc_end21-_ZN9rocsparseL27csrsv_analysis_lower_kernelILj1024ELj32ELb0EilEEvT3_PKT2_PKS1_PS2_PiS7_PS1_21rocsparse_index_base_20rocsparse_diag_type_
                                        ; -- End function
	.set _ZN9rocsparseL27csrsv_analysis_lower_kernelILj1024ELj32ELb0EilEEvT3_PKT2_PKS1_PS2_PiS7_PS1_21rocsparse_index_base_20rocsparse_diag_type_.num_vgpr, 15
	.set _ZN9rocsparseL27csrsv_analysis_lower_kernelILj1024ELj32ELb0EilEEvT3_PKT2_PKS1_PS2_PiS7_PS1_21rocsparse_index_base_20rocsparse_diag_type_.num_agpr, 0
	.set _ZN9rocsparseL27csrsv_analysis_lower_kernelILj1024ELj32ELb0EilEEvT3_PKT2_PKS1_PS2_PiS7_PS1_21rocsparse_index_base_20rocsparse_diag_type_.numbered_sgpr, 22
	.set _ZN9rocsparseL27csrsv_analysis_lower_kernelILj1024ELj32ELb0EilEEvT3_PKT2_PKS1_PS2_PiS7_PS1_21rocsparse_index_base_20rocsparse_diag_type_.num_named_barrier, 0
	.set _ZN9rocsparseL27csrsv_analysis_lower_kernelILj1024ELj32ELb0EilEEvT3_PKT2_PKS1_PS2_PiS7_PS1_21rocsparse_index_base_20rocsparse_diag_type_.private_seg_size, 0
	.set _ZN9rocsparseL27csrsv_analysis_lower_kernelILj1024ELj32ELb0EilEEvT3_PKT2_PKS1_PS2_PiS7_PS1_21rocsparse_index_base_20rocsparse_diag_type_.uses_vcc, 1
	.set _ZN9rocsparseL27csrsv_analysis_lower_kernelILj1024ELj32ELb0EilEEvT3_PKT2_PKS1_PS2_PiS7_PS1_21rocsparse_index_base_20rocsparse_diag_type_.uses_flat_scratch, 0
	.set _ZN9rocsparseL27csrsv_analysis_lower_kernelILj1024ELj32ELb0EilEEvT3_PKT2_PKS1_PS2_PiS7_PS1_21rocsparse_index_base_20rocsparse_diag_type_.has_dyn_sized_stack, 0
	.set _ZN9rocsparseL27csrsv_analysis_lower_kernelILj1024ELj32ELb0EilEEvT3_PKT2_PKS1_PS2_PiS7_PS1_21rocsparse_index_base_20rocsparse_diag_type_.has_recursion, 0
	.set _ZN9rocsparseL27csrsv_analysis_lower_kernelILj1024ELj32ELb0EilEEvT3_PKT2_PKS1_PS2_PiS7_PS1_21rocsparse_index_base_20rocsparse_diag_type_.has_indirect_call, 0
	.section	.AMDGPU.csdata,"",@progbits
; Kernel info:
; codeLenInByte = 1252
; TotalNumSgprs: 24
; NumVgprs: 15
; ScratchSize: 0
; MemoryBound: 0
; FloatMode: 240
; IeeeMode: 1
; LDSByteSize: 128 bytes/workgroup (compile time only)
; SGPRBlocks: 0
; VGPRBlocks: 0
; NumSGPRsForWavesPerEU: 24
; NumVGPRsForWavesPerEU: 15
; NamedBarCnt: 0
; Occupancy: 16
; WaveLimiterHint : 1
; COMPUTE_PGM_RSRC2:SCRATCH_EN: 0
; COMPUTE_PGM_RSRC2:USER_SGPR: 2
; COMPUTE_PGM_RSRC2:TRAP_HANDLER: 0
; COMPUTE_PGM_RSRC2:TGID_X_EN: 1
; COMPUTE_PGM_RSRC2:TGID_Y_EN: 0
; COMPUTE_PGM_RSRC2:TGID_Z_EN: 0
; COMPUTE_PGM_RSRC2:TIDIG_COMP_CNT: 0
	.section	.text._ZN9rocsparseL27csrsv_analysis_upper_kernelILj1024ELj64ELb0EilEEvT3_PKT2_PKS1_PS2_PiS7_PS1_21rocsparse_index_base_20rocsparse_diag_type_,"axG",@progbits,_ZN9rocsparseL27csrsv_analysis_upper_kernelILj1024ELj64ELb0EilEEvT3_PKT2_PKS1_PS2_PiS7_PS1_21rocsparse_index_base_20rocsparse_diag_type_,comdat
	.globl	_ZN9rocsparseL27csrsv_analysis_upper_kernelILj1024ELj64ELb0EilEEvT3_PKT2_PKS1_PS2_PiS7_PS1_21rocsparse_index_base_20rocsparse_diag_type_ ; -- Begin function _ZN9rocsparseL27csrsv_analysis_upper_kernelILj1024ELj64ELb0EilEEvT3_PKT2_PKS1_PS2_PiS7_PS1_21rocsparse_index_base_20rocsparse_diag_type_
	.p2align	8
	.type	_ZN9rocsparseL27csrsv_analysis_upper_kernelILj1024ELj64ELb0EilEEvT3_PKT2_PKS1_PS2_PiS7_PS1_21rocsparse_index_base_20rocsparse_diag_type_,@function
_ZN9rocsparseL27csrsv_analysis_upper_kernelILj1024ELj64ELb0EilEEvT3_PKT2_PKS1_PS2_PiS7_PS1_21rocsparse_index_base_20rocsparse_diag_type_: ; @_ZN9rocsparseL27csrsv_analysis_upper_kernelILj1024ELj64ELb0EilEEvT3_PKT2_PKS1_PS2_PiS7_PS1_21rocsparse_index_base_20rocsparse_diag_type_
; %bb.0:
	s_load_b64 s[2:3], s[0:1], 0x0
	s_bfe_u32 s4, ttmp6, 0x4000c
	s_and_b32 s5, ttmp6, 15
	s_add_co_i32 s4, s4, 1
	s_getreg_b32 s6, hwreg(HW_REG_IB_STS2, 6, 4)
	s_mul_i32 s4, ttmp9, s4
	s_mov_b32 s13, 0
	s_add_co_i32 s5, s5, s4
	s_cmp_eq_u32 s6, 0
	v_dual_mov_b32 v5, 0 :: v_dual_lshrrev_b32 v4, 6, v0
	s_cselect_b32 s4, ttmp9, s5
	s_delay_alu instid0(SALU_CYCLE_1) | instskip(NEXT) | instid1(VALU_DEP_1)
	s_lshl_b32 s12, s4, 4
	v_lshlrev_b32_e32 v8, 2, v4
	s_not_b64 s[4:5], s[12:13]
	ds_store_b32 v8, v5
	s_wait_kmcnt 0x0
	s_add_nc_u64 s[14:15], s[2:3], s[4:5]
	s_wait_dscnt 0x0
	v_sub_nc_u64_e32 v[2:3], s[14:15], v[4:5]
	s_barrier_signal -1
	s_barrier_wait -1
	s_mov_b32 s3, exec_lo
	s_delay_alu instid0(VALU_DEP_1)
	v_cmpx_lt_i64_e32 -1, v[2:3]
	s_cbranch_execz .LBB22_32
; %bb.1:
	s_clause 0x1
	s_load_b64 s[6:7], s[0:1], 0x18
	s_load_b64 s[4:5], s[0:1], 0x8
	v_and_b32_e32 v9, 63, v0
	s_mov_b32 s3, exec_lo
	s_wait_kmcnt 0x0
	v_lshl_add_u64 v[0:1], v[2:3], 2, s[6:7]
	s_delay_alu instid0(VALU_DEP_2)
	v_cmpx_eq_u32_e32 0, v9
	s_cbranch_execz .LBB22_3
; %bb.2:
	v_mov_b32_e32 v4, -1
	global_store_b32 v[0:1], v4, off
.LBB22_3:
	s_wait_xcnt 0x0
	s_or_b32 exec_lo, exec_lo, s3
	v_lshl_add_u64 v[4:5], v[2:3], 2, s[4:5]
	s_load_b256 s[4:11], s[0:1], 0x20
	v_mov_b32_e32 v6, 0
	s_mov_b32 s3, exec_lo
	global_load_b64 v[4:5], v[4:5], off
	s_wait_loadcnt 0x0
	s_wait_kmcnt 0x0
	v_subrev_nc_u32_e32 v10, s10, v5
	v_subrev_nc_u32_e32 v11, s10, v4
	s_delay_alu instid0(VALU_DEP_2) | instskip(SKIP_1) | instid1(VALU_DEP_1)
	v_xad_u32 v7, v9, -1, v10
	s_wait_xcnt 0x0
	v_cmpx_ge_i32_e64 v7, v11
	s_cbranch_execz .LBB22_22
; %bb.4:
	s_load_b64 s[0:1], s[0:1], 0x10
	v_mov_b32_e32 v6, 0
	s_mov_b32 s17, 0
	s_mov_b32 s16, s10
	;; [unrolled: 1-line block ×3, first 2 shown]
                                        ; implicit-def: $sgpr13
                                        ; implicit-def: $sgpr20
                                        ; implicit-def: $sgpr19
	s_branch .LBB22_7
.LBB22_5:                               ;   in Loop: Header=BB22_7 Depth=1
	s_or_b32 exec_lo, exec_lo, s22
	v_subrev_nc_u32_e32 v7, 64, v13
	v_max_i32_e32 v6, v14, v12
	s_and_not1_b32 s20, s20, exec_lo
	s_and_not1_b32 s19, s19, exec_lo
	s_delay_alu instid0(VALU_DEP_2) | instskip(SKIP_1) | instid1(SALU_CYCLE_1)
	v_cmp_lt_i32_e32 vcc_lo, v7, v11
	s_and_b32 s22, vcc_lo, exec_lo
	s_or_b32 s20, s20, s22
.LBB22_6:                               ;   in Loop: Header=BB22_7 Depth=1
	s_or_b32 exec_lo, exec_lo, s21
	s_delay_alu instid0(SALU_CYCLE_1) | instskip(NEXT) | instid1(SALU_CYCLE_1)
	s_and_b32 s21, exec_lo, s20
	s_or_b32 s18, s21, s18
	s_and_not1_b32 s13, s13, exec_lo
	s_and_b32 s21, s19, exec_lo
	s_delay_alu instid0(SALU_CYCLE_1)
	s_or_b32 s13, s13, s21
	s_and_not1_b32 exec_lo, exec_lo, s18
	s_cbranch_execz .LBB22_12
.LBB22_7:                               ; =>This Loop Header: Depth=1
                                        ;     Child Loop BB22_10 Depth 2
	s_wait_kmcnt 0x0
	global_load_b64 v[4:5], v7, s[0:1] scale_offset th:TH_LOAD_NT
	v_dual_mov_b32 v13, v7 :: v_dual_mov_b32 v12, v6
	s_or_b32 s19, s19, exec_lo
	s_or_b32 s20, s20, exec_lo
	s_mov_b32 s21, exec_lo
                                        ; implicit-def: $vgpr7
                                        ; implicit-def: $vgpr6
	s_wait_loadcnt 0x0
	v_sub_nc_u64_e64 v[4:5], v[4:5], s[16:17]
	s_wait_xcnt 0x0
	s_delay_alu instid0(VALU_DEP_1)
	v_cmpx_lt_i64_e64 s[14:15], v[4:5]
	s_cbranch_execz .LBB22_6
; %bb.8:                                ;   in Loop: Header=BB22_7 Depth=1
	v_lshl_add_u64 v[6:7], v[4:5], 2, s[4:5]
	s_mov_b32 s22, exec_lo
	global_load_b32 v14, v[6:7], off scope:SCOPE_DEV
	s_wait_loadcnt 0x0
	v_cmpx_eq_u32_e32 0, v14
	s_cbranch_execz .LBB22_5
; %bb.9:                                ;   in Loop: Header=BB22_7 Depth=1
	s_mov_b32 s23, 0
.LBB22_10:                              ;   Parent Loop BB22_7 Depth=1
                                        ; =>  This Inner Loop Header: Depth=2
	global_load_b32 v14, v[6:7], off scope:SCOPE_DEV
	s_wait_loadcnt 0x0
	v_cmp_ne_u32_e32 vcc_lo, 0, v14
	s_or_b32 s23, vcc_lo, s23
	s_wait_xcnt 0x0
	s_and_not1_b32 exec_lo, exec_lo, s23
	s_cbranch_execnz .LBB22_10
; %bb.11:                               ;   in Loop: Header=BB22_7 Depth=1
	s_or_b32 exec_lo, exec_lo, s23
	s_branch .LBB22_5
.LBB22_12:
	s_or_b32 exec_lo, exec_lo, s18
	s_and_saveexec_b32 s0, s13
	s_delay_alu instid0(SALU_CYCLE_1)
	s_xor_b32 s0, exec_lo, s0
	s_cbranch_execz .LBB22_21
; %bb.13:
	s_mov_b32 s1, exec_lo
	v_cmpx_eq_u64_e64 v[4:5], v[2:3]
	s_cbranch_execz .LBB22_15
; %bb.14:
	global_store_b32 v[0:1], v13, off
.LBB22_15:
	s_wait_xcnt 0x0
	s_or_b32 exec_lo, exec_lo, s1
	s_delay_alu instid0(SALU_CYCLE_1)
	s_mov_b32 s1, exec_lo
	v_cmpx_gt_i64_e64 v[4:5], v[2:3]
	s_cbranch_execz .LBB22_20
; %bb.16:
	s_xor_b32 s12, s12, 0x3ffffff0
	s_delay_alu instid0(SALU_CYCLE_1) | instskip(SKIP_3) | instid1(VALU_DEP_1)
	s_add_co_i32 s2, s2, s12
	s_mov_b32 s12, 0
	v_sub_nc_u32_e32 v4, s2, v4
	s_mov_b32 s2, exec_lo
	v_lshlrev_b32_e32 v5, 2, v4
	ds_load_b32 v4, v5 offset:60
	s_wait_dscnt 0x0
	v_cmpx_eq_u32_e32 0, v4
	s_cbranch_execz .LBB22_19
.LBB22_17:                              ; =>This Inner Loop Header: Depth=1
	ds_load_b32 v4, v5 offset:60
	s_wait_dscnt 0x0
	v_cmp_ne_u32_e32 vcc_lo, 0, v4
	s_or_b32 s12, vcc_lo, s12
	s_delay_alu instid0(SALU_CYCLE_1)
	s_and_not1_b32 exec_lo, exec_lo, s12
	s_cbranch_execnz .LBB22_17
; %bb.18:
	s_or_b32 exec_lo, exec_lo, s12
.LBB22_19:
	s_delay_alu instid0(SALU_CYCLE_1)
	s_or_b32 exec_lo, exec_lo, s2
	v_max_i32_e32 v12, v4, v12
.LBB22_20:
	s_or_b32 exec_lo, exec_lo, s1
	s_delay_alu instid0(VALU_DEP_1)
	v_mov_b32_e32 v6, v12
.LBB22_21:
	s_or_b32 exec_lo, exec_lo, s0
.LBB22_22:
	s_delay_alu instid0(SALU_CYCLE_1) | instskip(SKIP_2) | instid1(VALU_DEP_1)
	s_or_b32 exec_lo, exec_lo, s3
	v_mbcnt_lo_u32_b32 v4, -1, 0
	s_wait_storecnt 0x0
	v_xor_b32_e32 v7, 16, v4
	v_or_b32_e32 v5, 32, v4
	s_delay_alu instid0(VALU_DEP_1) | instskip(SKIP_1) | instid1(VALU_DEP_4)
	v_cmp_gt_i32_e32 vcc_lo, 32, v5
	v_cndmask_b32_e32 v5, v4, v5, vcc_lo
	v_cmp_gt_i32_e32 vcc_lo, 32, v7
	v_cndmask_b32_e32 v7, v4, v7, vcc_lo
	s_delay_alu instid0(VALU_DEP_1)
	v_dual_lshlrev_b32 v7, 2, v7 :: v_dual_lshlrev_b32 v5, 2, v5
	ds_bpermute_b32 v5, v5, v6
	s_wait_dscnt 0x0
	v_max_i32_e32 v5, v6, v5
	ds_bpermute_b32 v6, v7, v5
	v_xor_b32_e32 v7, 8, v4
	s_delay_alu instid0(VALU_DEP_1) | instskip(SKIP_2) | instid1(VALU_DEP_1)
	v_cmp_gt_i32_e32 vcc_lo, 32, v7
	v_cndmask_b32_e32 v7, v4, v7, vcc_lo
	s_wait_dscnt 0x0
	v_dual_lshlrev_b32 v7, 2, v7 :: v_dual_max_i32 v5, v5, v6
	ds_bpermute_b32 v6, v7, v5
	v_xor_b32_e32 v7, 4, v4
	s_delay_alu instid0(VALU_DEP_1) | instskip(SKIP_2) | instid1(VALU_DEP_1)
	v_cmp_gt_i32_e32 vcc_lo, 32, v7
	s_wait_dscnt 0x0
	v_dual_cndmask_b32 v7, v4, v7, vcc_lo :: v_dual_max_i32 v5, v5, v6
	v_lshlrev_b32_e32 v7, 2, v7
	ds_bpermute_b32 v6, v7, v5
	v_xor_b32_e32 v7, 2, v4
	s_delay_alu instid0(VALU_DEP_1) | instskip(SKIP_2) | instid1(VALU_DEP_1)
	v_cmp_gt_i32_e32 vcc_lo, 32, v7
	s_wait_dscnt 0x0
	v_dual_cndmask_b32 v7, v4, v7, vcc_lo :: v_dual_max_i32 v5, v5, v6
	v_lshlrev_b32_e32 v7, 2, v7
	ds_bpermute_b32 v6, v7, v5
	v_xor_b32_e32 v7, 1, v4
	s_delay_alu instid0(VALU_DEP_1) | instskip(SKIP_3) | instid1(VALU_DEP_2)
	v_cmp_gt_i32_e32 vcc_lo, 32, v7
	v_cndmask_b32_e32 v7, v4, v7, vcc_lo
	v_cmp_eq_u32_e32 vcc_lo, 63, v9
	s_wait_dscnt 0x0
	v_dual_lshlrev_b32 v5, 2, v7 :: v_dual_max_i32 v4, v5, v6
	ds_bpermute_b32 v5, v5, v4
	s_and_b32 exec_lo, exec_lo, vcc_lo
	s_cbranch_execz .LBB22_32
; %bb.23:
	s_wait_dscnt 0x0
	v_max_i32_e32 v4, v4, v5
	v_lshl_add_u64 v[6:7], v[2:3], 2, s[4:5]
	s_mov_b32 s1, exec_lo
	s_brev_b32 s0, 1
	s_delay_alu instid0(VALU_DEP_2)
	v_dual_add_nc_u32 v5, 1, v4 :: v_dual_sub_nc_u32 v4, v10, v11
	ds_store_b32 v8, v5
	global_store_b32 v[6:7], v5, off scope:SCOPE_DEV
.LBB22_24:                              ; =>This Inner Loop Header: Depth=1
	s_ctz_i32_b32 s2, s1
	s_delay_alu instid0(SALU_CYCLE_1) | instskip(SKIP_1) | instid1(SALU_CYCLE_1)
	v_readlane_b32 s3, v4, s2
	s_lshl_b32 s2, 1, s2
	s_and_not1_b32 s1, s1, s2
	s_max_i32 s0, s0, s3
	s_cmp_lg_u32 s1, 0
	s_cbranch_scc1 .LBB22_24
; %bb.25:
	v_mbcnt_lo_u32_b32 v4, exec_lo, 0
	s_mov_b32 s1, exec_lo
	s_wait_xcnt 0x0
	s_delay_alu instid0(VALU_DEP_1)
	v_cmpx_eq_u32_e32 0, v4
	s_xor_b32 s1, exec_lo, s1
	s_cbranch_execz .LBB22_27
; %bb.26:
	v_dual_mov_b32 v4, 0 :: v_dual_mov_b32 v5, s0
	global_atomic_max_i32 v4, v5, s[6:7] scope:SCOPE_DEV
.LBB22_27:
	s_wait_xcnt 0x0
	s_or_b32 exec_lo, exec_lo, s1
	global_load_b32 v0, v[0:1], off
	s_cmp_eq_u32 s11, 0
	s_cselect_b32 s0, -1, 0
	s_wait_loadcnt 0x0
	v_cmp_eq_u32_e32 vcc_lo, -1, v0
	s_and_b32 s0, s0, vcc_lo
	s_wait_xcnt 0x0
	s_and_b32 exec_lo, exec_lo, s0
	s_cbranch_execz .LBB22_32
; %bb.28:
	s_mov_b32 s11, 0
	v_mov_b64_e32 v[0:1], -1
	v_add_nc_u64_e32 v[2:3], s[10:11], v[2:3]
	s_mov_b32 s0, exec_lo
.LBB22_29:                              ; =>This Inner Loop Header: Depth=1
	s_delay_alu instid0(SALU_CYCLE_1)
	s_ctz_i32_b32 s1, s0
	s_delay_alu instid0(VALU_DEP_1) | instid1(SALU_CYCLE_1)
	v_readlane_b32 s3, v3, s1
	s_delay_alu instid0(VALU_DEP_2) | instskip(SKIP_1) | instid1(SALU_CYCLE_1)
	v_readlane_b32 s2, v2, s1
	s_lshl_b32 s1, 1, s1
	s_and_not1_b32 s0, s0, s1
	v_min_u64 v[0:1], v[0:1], s[2:3]
	s_cmp_lg_u32 s0, 0
	s_cbranch_scc1 .LBB22_29
; %bb.30:
	v_mbcnt_lo_u32_b32 v2, exec_lo, 0
	s_mov_b32 s0, exec_lo
	s_delay_alu instid0(VALU_DEP_1)
	v_cmpx_eq_u32_e32 0, v2
	s_xor_b32 s0, exec_lo, s0
	s_cbranch_execz .LBB22_32
; %bb.31:
	v_mov_b32_e32 v2, 0
	global_atomic_min_u64 v2, v[0:1], s[8:9] scope:SCOPE_DEV
.LBB22_32:
	s_endpgm
	.section	.rodata,"a",@progbits
	.p2align	6, 0x0
	.amdhsa_kernel _ZN9rocsparseL27csrsv_analysis_upper_kernelILj1024ELj64ELb0EilEEvT3_PKT2_PKS1_PS2_PiS7_PS1_21rocsparse_index_base_20rocsparse_diag_type_
		.amdhsa_group_segment_fixed_size 64
		.amdhsa_private_segment_fixed_size 0
		.amdhsa_kernarg_size 64
		.amdhsa_user_sgpr_count 2
		.amdhsa_user_sgpr_dispatch_ptr 0
		.amdhsa_user_sgpr_queue_ptr 0
		.amdhsa_user_sgpr_kernarg_segment_ptr 1
		.amdhsa_user_sgpr_dispatch_id 0
		.amdhsa_user_sgpr_kernarg_preload_length 0
		.amdhsa_user_sgpr_kernarg_preload_offset 0
		.amdhsa_user_sgpr_private_segment_size 0
		.amdhsa_wavefront_size32 1
		.amdhsa_uses_dynamic_stack 0
		.amdhsa_enable_private_segment 0
		.amdhsa_system_sgpr_workgroup_id_x 1
		.amdhsa_system_sgpr_workgroup_id_y 0
		.amdhsa_system_sgpr_workgroup_id_z 0
		.amdhsa_system_sgpr_workgroup_info 0
		.amdhsa_system_vgpr_workitem_id 0
		.amdhsa_next_free_vgpr 15
		.amdhsa_next_free_sgpr 24
		.amdhsa_named_barrier_count 0
		.amdhsa_reserve_vcc 1
		.amdhsa_float_round_mode_32 0
		.amdhsa_float_round_mode_16_64 0
		.amdhsa_float_denorm_mode_32 3
		.amdhsa_float_denorm_mode_16_64 3
		.amdhsa_fp16_overflow 0
		.amdhsa_memory_ordered 1
		.amdhsa_forward_progress 1
		.amdhsa_inst_pref_size 11
		.amdhsa_round_robin_scheduling 0
		.amdhsa_exception_fp_ieee_invalid_op 0
		.amdhsa_exception_fp_denorm_src 0
		.amdhsa_exception_fp_ieee_div_zero 0
		.amdhsa_exception_fp_ieee_overflow 0
		.amdhsa_exception_fp_ieee_underflow 0
		.amdhsa_exception_fp_ieee_inexact 0
		.amdhsa_exception_int_div_zero 0
	.end_amdhsa_kernel
	.section	.text._ZN9rocsparseL27csrsv_analysis_upper_kernelILj1024ELj64ELb0EilEEvT3_PKT2_PKS1_PS2_PiS7_PS1_21rocsparse_index_base_20rocsparse_diag_type_,"axG",@progbits,_ZN9rocsparseL27csrsv_analysis_upper_kernelILj1024ELj64ELb0EilEEvT3_PKT2_PKS1_PS2_PiS7_PS1_21rocsparse_index_base_20rocsparse_diag_type_,comdat
.Lfunc_end22:
	.size	_ZN9rocsparseL27csrsv_analysis_upper_kernelILj1024ELj64ELb0EilEEvT3_PKT2_PKS1_PS2_PiS7_PS1_21rocsparse_index_base_20rocsparse_diag_type_, .Lfunc_end22-_ZN9rocsparseL27csrsv_analysis_upper_kernelILj1024ELj64ELb0EilEEvT3_PKT2_PKS1_PS2_PiS7_PS1_21rocsparse_index_base_20rocsparse_diag_type_
                                        ; -- End function
	.set _ZN9rocsparseL27csrsv_analysis_upper_kernelILj1024ELj64ELb0EilEEvT3_PKT2_PKS1_PS2_PiS7_PS1_21rocsparse_index_base_20rocsparse_diag_type_.num_vgpr, 15
	.set _ZN9rocsparseL27csrsv_analysis_upper_kernelILj1024ELj64ELb0EilEEvT3_PKT2_PKS1_PS2_PiS7_PS1_21rocsparse_index_base_20rocsparse_diag_type_.num_agpr, 0
	.set _ZN9rocsparseL27csrsv_analysis_upper_kernelILj1024ELj64ELb0EilEEvT3_PKT2_PKS1_PS2_PiS7_PS1_21rocsparse_index_base_20rocsparse_diag_type_.numbered_sgpr, 24
	.set _ZN9rocsparseL27csrsv_analysis_upper_kernelILj1024ELj64ELb0EilEEvT3_PKT2_PKS1_PS2_PiS7_PS1_21rocsparse_index_base_20rocsparse_diag_type_.num_named_barrier, 0
	.set _ZN9rocsparseL27csrsv_analysis_upper_kernelILj1024ELj64ELb0EilEEvT3_PKT2_PKS1_PS2_PiS7_PS1_21rocsparse_index_base_20rocsparse_diag_type_.private_seg_size, 0
	.set _ZN9rocsparseL27csrsv_analysis_upper_kernelILj1024ELj64ELb0EilEEvT3_PKT2_PKS1_PS2_PiS7_PS1_21rocsparse_index_base_20rocsparse_diag_type_.uses_vcc, 1
	.set _ZN9rocsparseL27csrsv_analysis_upper_kernelILj1024ELj64ELb0EilEEvT3_PKT2_PKS1_PS2_PiS7_PS1_21rocsparse_index_base_20rocsparse_diag_type_.uses_flat_scratch, 0
	.set _ZN9rocsparseL27csrsv_analysis_upper_kernelILj1024ELj64ELb0EilEEvT3_PKT2_PKS1_PS2_PiS7_PS1_21rocsparse_index_base_20rocsparse_diag_type_.has_dyn_sized_stack, 0
	.set _ZN9rocsparseL27csrsv_analysis_upper_kernelILj1024ELj64ELb0EilEEvT3_PKT2_PKS1_PS2_PiS7_PS1_21rocsparse_index_base_20rocsparse_diag_type_.has_recursion, 0
	.set _ZN9rocsparseL27csrsv_analysis_upper_kernelILj1024ELj64ELb0EilEEvT3_PKT2_PKS1_PS2_PiS7_PS1_21rocsparse_index_base_20rocsparse_diag_type_.has_indirect_call, 0
	.section	.AMDGPU.csdata,"",@progbits
; Kernel info:
; codeLenInByte = 1304
; TotalNumSgprs: 26
; NumVgprs: 15
; ScratchSize: 0
; MemoryBound: 0
; FloatMode: 240
; IeeeMode: 1
; LDSByteSize: 64 bytes/workgroup (compile time only)
; SGPRBlocks: 0
; VGPRBlocks: 0
; NumSGPRsForWavesPerEU: 26
; NumVGPRsForWavesPerEU: 15
; NamedBarCnt: 0
; Occupancy: 16
; WaveLimiterHint : 1
; COMPUTE_PGM_RSRC2:SCRATCH_EN: 0
; COMPUTE_PGM_RSRC2:USER_SGPR: 2
; COMPUTE_PGM_RSRC2:TRAP_HANDLER: 0
; COMPUTE_PGM_RSRC2:TGID_X_EN: 1
; COMPUTE_PGM_RSRC2:TGID_Y_EN: 0
; COMPUTE_PGM_RSRC2:TGID_Z_EN: 0
; COMPUTE_PGM_RSRC2:TIDIG_COMP_CNT: 0
	.section	.text._ZN9rocsparseL27csrsv_analysis_lower_kernelILj1024ELj64ELb0EilEEvT3_PKT2_PKS1_PS2_PiS7_PS1_21rocsparse_index_base_20rocsparse_diag_type_,"axG",@progbits,_ZN9rocsparseL27csrsv_analysis_lower_kernelILj1024ELj64ELb0EilEEvT3_PKT2_PKS1_PS2_PiS7_PS1_21rocsparse_index_base_20rocsparse_diag_type_,comdat
	.globl	_ZN9rocsparseL27csrsv_analysis_lower_kernelILj1024ELj64ELb0EilEEvT3_PKT2_PKS1_PS2_PiS7_PS1_21rocsparse_index_base_20rocsparse_diag_type_ ; -- Begin function _ZN9rocsparseL27csrsv_analysis_lower_kernelILj1024ELj64ELb0EilEEvT3_PKT2_PKS1_PS2_PiS7_PS1_21rocsparse_index_base_20rocsparse_diag_type_
	.p2align	8
	.type	_ZN9rocsparseL27csrsv_analysis_lower_kernelILj1024ELj64ELb0EilEEvT3_PKT2_PKS1_PS2_PiS7_PS1_21rocsparse_index_base_20rocsparse_diag_type_,@function
_ZN9rocsparseL27csrsv_analysis_lower_kernelILj1024ELj64ELb0EilEEvT3_PKT2_PKS1_PS2_PiS7_PS1_21rocsparse_index_base_20rocsparse_diag_type_: ; @_ZN9rocsparseL27csrsv_analysis_lower_kernelILj1024ELj64ELb0EilEEvT3_PKT2_PKS1_PS2_PiS7_PS1_21rocsparse_index_base_20rocsparse_diag_type_
; %bb.0:
	s_load_b64 s[4:5], s[0:1], 0x0
	s_bfe_u32 s2, ttmp6, 0x4000c
	s_and_b32 s3, ttmp6, 15
	s_add_co_i32 s2, s2, 1
	s_getreg_b32 s6, hwreg(HW_REG_IB_STS2, 6, 4)
	s_mul_i32 s2, ttmp9, s2
	v_dual_lshrrev_b32 v1, 6, v0 :: v_dual_mov_b32 v3, 0
	s_add_co_i32 s3, s3, s2
	s_cmp_eq_u32 s6, 0
	s_cselect_b32 s2, ttmp9, s3
	s_mov_b32 s3, exec_lo
	s_lshl_b32 s2, s2, 4
	s_delay_alu instid0(SALU_CYCLE_1)
	v_dual_lshlrev_b32 v8, 2, v1 :: v_dual_bitop2_b32 v2, s2, v1 bitop3:0x54
	ds_store_b32 v8, v3
	s_wait_dscnt 0x0
	s_barrier_signal -1
	s_barrier_wait -1
	s_wait_kmcnt 0x0
	v_cmpx_gt_i64_e64 s[4:5], v[2:3]
	s_cbranch_execz .LBB23_32
; %bb.1:
	s_clause 0x1
	s_load_b64 s[6:7], s[0:1], 0x18
	s_load_b64 s[4:5], s[0:1], 0x8
	v_and_b32_e32 v9, 63, v0
	s_mov_b32 s3, exec_lo
	s_wait_kmcnt 0x0
	v_lshl_add_u64 v[0:1], v[2:3], 2, s[6:7]
	s_delay_alu instid0(VALU_DEP_2)
	v_cmpx_eq_u32_e32 0, v9
	s_cbranch_execz .LBB23_3
; %bb.2:
	v_mov_b32_e32 v4, -1
	global_store_b32 v[0:1], v4, off
.LBB23_3:
	s_wait_xcnt 0x0
	s_or_b32 exec_lo, exec_lo, s3
	v_lshl_add_u64 v[4:5], v[2:3], 2, s[4:5]
	s_load_b256 s[4:11], s[0:1], 0x20
	s_mov_b32 s14, exec_lo
	v_mov_b32_e32 v6, 0
	global_load_b64 v[4:5], v[4:5], off
	s_wait_loadcnt 0x0
	s_wait_kmcnt 0x0
	v_subrev_nc_u32_e32 v10, s10, v4
	v_subrev_nc_u32_e32 v11, s10, v5
	s_delay_alu instid0(VALU_DEP_2) | instskip(SKIP_1) | instid1(VALU_DEP_1)
	v_add_nc_u32_e32 v7, v10, v9
	s_wait_xcnt 0x0
	v_cmpx_lt_i32_e64 v7, v11
	s_cbranch_execz .LBB23_22
; %bb.4:
	s_load_b64 s[0:1], s[0:1], 0x10
	v_mov_b32_e32 v6, 0
	s_mov_b32 s3, 0
	s_mov_b32 s12, s10
	;; [unrolled: 1-line block ×4, first 2 shown]
                                        ; implicit-def: $sgpr15
                                        ; implicit-def: $sgpr18
                                        ; implicit-def: $sgpr17
	s_branch .LBB23_7
.LBB23_5:                               ;   in Loop: Header=BB23_7 Depth=1
	s_or_b32 exec_lo, exec_lo, s20
	v_dual_add_nc_u32 v7, 64, v13 :: v_dual_max_i32 v6, v14, v12
	s_and_not1_b32 s18, s18, exec_lo
	s_and_not1_b32 s17, s17, exec_lo
	s_delay_alu instid0(VALU_DEP_1) | instskip(SKIP_1) | instid1(SALU_CYCLE_1)
	v_cmp_ge_i32_e32 vcc_lo, v7, v11
	s_and_b32 s20, vcc_lo, exec_lo
	s_or_b32 s18, s18, s20
.LBB23_6:                               ;   in Loop: Header=BB23_7 Depth=1
	s_or_b32 exec_lo, exec_lo, s19
	s_delay_alu instid0(SALU_CYCLE_1) | instskip(NEXT) | instid1(SALU_CYCLE_1)
	s_and_b32 s19, exec_lo, s18
	s_or_b32 s16, s19, s16
	s_and_not1_b32 s15, s15, exec_lo
	s_and_b32 s19, s17, exec_lo
	s_delay_alu instid0(SALU_CYCLE_1)
	s_or_b32 s15, s15, s19
	s_and_not1_b32 exec_lo, exec_lo, s16
	s_cbranch_execz .LBB23_12
.LBB23_7:                               ; =>This Loop Header: Depth=1
                                        ;     Child Loop BB23_10 Depth 2
	s_wait_kmcnt 0x0
	global_load_b64 v[4:5], v7, s[0:1] scale_offset th:TH_LOAD_NT
	v_dual_mov_b32 v13, v7 :: v_dual_mov_b32 v12, v6
	s_or_b32 s17, s17, exec_lo
	s_or_b32 s18, s18, exec_lo
	s_mov_b32 s19, exec_lo
                                        ; implicit-def: $vgpr7
                                        ; implicit-def: $vgpr6
	s_wait_loadcnt 0x0
	v_sub_nc_u64_e64 v[4:5], v[4:5], s[12:13]
	s_wait_xcnt 0x0
	s_delay_alu instid0(VALU_DEP_1)
	v_cmpx_gt_i64_e64 s[2:3], v[4:5]
	s_cbranch_execz .LBB23_6
; %bb.8:                                ;   in Loop: Header=BB23_7 Depth=1
	v_lshl_add_u64 v[6:7], v[4:5], 2, s[4:5]
	s_mov_b32 s20, exec_lo
	global_load_b32 v14, v[6:7], off scope:SCOPE_DEV
	s_wait_loadcnt 0x0
	v_cmpx_eq_u32_e32 0, v14
	s_cbranch_execz .LBB23_5
; %bb.9:                                ;   in Loop: Header=BB23_7 Depth=1
	s_mov_b32 s21, 0
.LBB23_10:                              ;   Parent Loop BB23_7 Depth=1
                                        ; =>  This Inner Loop Header: Depth=2
	global_load_b32 v14, v[6:7], off scope:SCOPE_DEV
	s_wait_loadcnt 0x0
	v_cmp_ne_u32_e32 vcc_lo, 0, v14
	s_or_b32 s21, vcc_lo, s21
	s_wait_xcnt 0x0
	s_and_not1_b32 exec_lo, exec_lo, s21
	s_cbranch_execnz .LBB23_10
; %bb.11:                               ;   in Loop: Header=BB23_7 Depth=1
	s_or_b32 exec_lo, exec_lo, s21
	s_branch .LBB23_5
.LBB23_12:
	s_or_b32 exec_lo, exec_lo, s16
	s_and_saveexec_b32 s0, s15
	s_delay_alu instid0(SALU_CYCLE_1)
	s_xor_b32 s0, exec_lo, s0
	s_cbranch_execz .LBB23_21
; %bb.13:
	s_mov_b32 s1, exec_lo
	v_cmpx_eq_u64_e64 v[4:5], v[2:3]
	s_cbranch_execz .LBB23_15
; %bb.14:
	global_store_b32 v[0:1], v13, off
.LBB23_15:
	s_wait_xcnt 0x0
	s_or_b32 exec_lo, exec_lo, s1
	s_delay_alu instid0(SALU_CYCLE_1)
	s_mov_b32 s1, exec_lo
	v_cmpx_lt_i64_e64 v[4:5], v[2:3]
	s_cbranch_execz .LBB23_20
; %bb.16:
	v_subrev_nc_u32_e32 v4, s2, v4
	s_mov_b32 s3, 0
	s_mov_b32 s2, exec_lo
	s_delay_alu instid0(VALU_DEP_1)
	v_lshlrev_b32_e32 v5, 2, v4
	ds_load_b32 v4, v5
	s_wait_dscnt 0x0
	v_cmpx_eq_u32_e32 0, v4
	s_cbranch_execz .LBB23_19
.LBB23_17:                              ; =>This Inner Loop Header: Depth=1
	ds_load_b32 v4, v5
	s_wait_dscnt 0x0
	v_cmp_ne_u32_e32 vcc_lo, 0, v4
	s_or_b32 s3, vcc_lo, s3
	s_delay_alu instid0(SALU_CYCLE_1)
	s_and_not1_b32 exec_lo, exec_lo, s3
	s_cbranch_execnz .LBB23_17
; %bb.18:
	s_or_b32 exec_lo, exec_lo, s3
.LBB23_19:
	s_delay_alu instid0(SALU_CYCLE_1)
	s_or_b32 exec_lo, exec_lo, s2
	v_max_i32_e32 v12, v4, v12
.LBB23_20:
	s_or_b32 exec_lo, exec_lo, s1
	s_delay_alu instid0(VALU_DEP_1)
	v_mov_b32_e32 v6, v12
.LBB23_21:
	s_or_b32 exec_lo, exec_lo, s0
.LBB23_22:
	s_delay_alu instid0(SALU_CYCLE_1) | instskip(SKIP_2) | instid1(VALU_DEP_1)
	s_or_b32 exec_lo, exec_lo, s14
	v_mbcnt_lo_u32_b32 v4, -1, 0
	s_wait_storecnt 0x0
	v_xor_b32_e32 v7, 16, v4
	v_or_b32_e32 v5, 32, v4
	s_delay_alu instid0(VALU_DEP_1) | instskip(SKIP_1) | instid1(VALU_DEP_4)
	v_cmp_gt_i32_e32 vcc_lo, 32, v5
	v_cndmask_b32_e32 v5, v4, v5, vcc_lo
	v_cmp_gt_i32_e32 vcc_lo, 32, v7
	v_cndmask_b32_e32 v7, v4, v7, vcc_lo
	s_delay_alu instid0(VALU_DEP_1)
	v_dual_lshlrev_b32 v7, 2, v7 :: v_dual_lshlrev_b32 v5, 2, v5
	ds_bpermute_b32 v5, v5, v6
	s_wait_dscnt 0x0
	v_max_i32_e32 v5, v6, v5
	ds_bpermute_b32 v6, v7, v5
	v_xor_b32_e32 v7, 8, v4
	s_delay_alu instid0(VALU_DEP_1) | instskip(SKIP_2) | instid1(VALU_DEP_1)
	v_cmp_gt_i32_e32 vcc_lo, 32, v7
	v_cndmask_b32_e32 v7, v4, v7, vcc_lo
	s_wait_dscnt 0x0
	v_dual_lshlrev_b32 v7, 2, v7 :: v_dual_max_i32 v5, v5, v6
	ds_bpermute_b32 v6, v7, v5
	v_xor_b32_e32 v7, 4, v4
	s_delay_alu instid0(VALU_DEP_1) | instskip(SKIP_2) | instid1(VALU_DEP_1)
	v_cmp_gt_i32_e32 vcc_lo, 32, v7
	s_wait_dscnt 0x0
	v_dual_cndmask_b32 v7, v4, v7, vcc_lo :: v_dual_max_i32 v5, v5, v6
	v_lshlrev_b32_e32 v7, 2, v7
	ds_bpermute_b32 v6, v7, v5
	v_xor_b32_e32 v7, 2, v4
	s_delay_alu instid0(VALU_DEP_1) | instskip(SKIP_2) | instid1(VALU_DEP_1)
	v_cmp_gt_i32_e32 vcc_lo, 32, v7
	s_wait_dscnt 0x0
	v_dual_cndmask_b32 v7, v4, v7, vcc_lo :: v_dual_max_i32 v5, v5, v6
	v_lshlrev_b32_e32 v7, 2, v7
	ds_bpermute_b32 v6, v7, v5
	v_xor_b32_e32 v7, 1, v4
	s_delay_alu instid0(VALU_DEP_1) | instskip(SKIP_3) | instid1(VALU_DEP_2)
	v_cmp_gt_i32_e32 vcc_lo, 32, v7
	v_cndmask_b32_e32 v7, v4, v7, vcc_lo
	v_cmp_eq_u32_e32 vcc_lo, 63, v9
	s_wait_dscnt 0x0
	v_dual_lshlrev_b32 v5, 2, v7 :: v_dual_max_i32 v4, v5, v6
	ds_bpermute_b32 v5, v5, v4
	s_and_b32 exec_lo, exec_lo, vcc_lo
	s_cbranch_execz .LBB23_32
; %bb.23:
	s_wait_dscnt 0x0
	v_max_i32_e32 v4, v4, v5
	v_lshl_add_u64 v[6:7], v[2:3], 2, s[4:5]
	s_mov_b32 s1, exec_lo
	s_brev_b32 s0, 1
	s_delay_alu instid0(VALU_DEP_2)
	v_dual_add_nc_u32 v5, 1, v4 :: v_dual_sub_nc_u32 v4, v11, v10
	ds_store_b32 v8, v5
	global_store_b32 v[6:7], v5, off scope:SCOPE_DEV
.LBB23_24:                              ; =>This Inner Loop Header: Depth=1
	s_ctz_i32_b32 s2, s1
	s_delay_alu instid0(SALU_CYCLE_1) | instskip(SKIP_1) | instid1(SALU_CYCLE_1)
	v_readlane_b32 s3, v4, s2
	s_lshl_b32 s2, 1, s2
	s_and_not1_b32 s1, s1, s2
	s_max_i32 s0, s0, s3
	s_cmp_lg_u32 s1, 0
	s_cbranch_scc1 .LBB23_24
; %bb.25:
	v_mbcnt_lo_u32_b32 v4, exec_lo, 0
	s_mov_b32 s1, exec_lo
	s_wait_xcnt 0x0
	s_delay_alu instid0(VALU_DEP_1)
	v_cmpx_eq_u32_e32 0, v4
	s_xor_b32 s1, exec_lo, s1
	s_cbranch_execz .LBB23_27
; %bb.26:
	v_dual_mov_b32 v4, 0 :: v_dual_mov_b32 v5, s0
	global_atomic_max_i32 v4, v5, s[6:7] scope:SCOPE_DEV
.LBB23_27:
	s_wait_xcnt 0x0
	s_or_b32 exec_lo, exec_lo, s1
	global_load_b32 v0, v[0:1], off
	s_cmp_eq_u32 s11, 0
	s_cselect_b32 s0, -1, 0
	s_wait_loadcnt 0x0
	v_cmp_eq_u32_e32 vcc_lo, -1, v0
	s_and_b32 s0, s0, vcc_lo
	s_wait_xcnt 0x0
	s_and_b32 exec_lo, exec_lo, s0
	s_cbranch_execz .LBB23_32
; %bb.28:
	s_mov_b32 s11, 0
	v_mov_b64_e32 v[0:1], -1
	v_add_nc_u64_e32 v[2:3], s[10:11], v[2:3]
	s_mov_b32 s0, exec_lo
.LBB23_29:                              ; =>This Inner Loop Header: Depth=1
	s_delay_alu instid0(SALU_CYCLE_1)
	s_ctz_i32_b32 s1, s0
	s_delay_alu instid0(VALU_DEP_1) | instid1(SALU_CYCLE_1)
	v_readlane_b32 s3, v3, s1
	s_delay_alu instid0(VALU_DEP_2) | instskip(SKIP_1) | instid1(SALU_CYCLE_1)
	v_readlane_b32 s2, v2, s1
	s_lshl_b32 s1, 1, s1
	s_and_not1_b32 s0, s0, s1
	v_min_u64 v[0:1], v[0:1], s[2:3]
	s_cmp_lg_u32 s0, 0
	s_cbranch_scc1 .LBB23_29
; %bb.30:
	v_mbcnt_lo_u32_b32 v2, exec_lo, 0
	s_mov_b32 s0, exec_lo
	s_delay_alu instid0(VALU_DEP_1)
	v_cmpx_eq_u32_e32 0, v2
	s_xor_b32 s0, exec_lo, s0
	s_cbranch_execz .LBB23_32
; %bb.31:
	v_mov_b32_e32 v2, 0
	global_atomic_min_u64 v2, v[0:1], s[8:9] scope:SCOPE_DEV
.LBB23_32:
	s_endpgm
	.section	.rodata,"a",@progbits
	.p2align	6, 0x0
	.amdhsa_kernel _ZN9rocsparseL27csrsv_analysis_lower_kernelILj1024ELj64ELb0EilEEvT3_PKT2_PKS1_PS2_PiS7_PS1_21rocsparse_index_base_20rocsparse_diag_type_
		.amdhsa_group_segment_fixed_size 64
		.amdhsa_private_segment_fixed_size 0
		.amdhsa_kernarg_size 64
		.amdhsa_user_sgpr_count 2
		.amdhsa_user_sgpr_dispatch_ptr 0
		.amdhsa_user_sgpr_queue_ptr 0
		.amdhsa_user_sgpr_kernarg_segment_ptr 1
		.amdhsa_user_sgpr_dispatch_id 0
		.amdhsa_user_sgpr_kernarg_preload_length 0
		.amdhsa_user_sgpr_kernarg_preload_offset 0
		.amdhsa_user_sgpr_private_segment_size 0
		.amdhsa_wavefront_size32 1
		.amdhsa_uses_dynamic_stack 0
		.amdhsa_enable_private_segment 0
		.amdhsa_system_sgpr_workgroup_id_x 1
		.amdhsa_system_sgpr_workgroup_id_y 0
		.amdhsa_system_sgpr_workgroup_id_z 0
		.amdhsa_system_sgpr_workgroup_info 0
		.amdhsa_system_vgpr_workitem_id 0
		.amdhsa_next_free_vgpr 15
		.amdhsa_next_free_sgpr 22
		.amdhsa_named_barrier_count 0
		.amdhsa_reserve_vcc 1
		.amdhsa_float_round_mode_32 0
		.amdhsa_float_round_mode_16_64 0
		.amdhsa_float_denorm_mode_32 3
		.amdhsa_float_denorm_mode_16_64 3
		.amdhsa_fp16_overflow 0
		.amdhsa_memory_ordered 1
		.amdhsa_forward_progress 1
		.amdhsa_inst_pref_size 11
		.amdhsa_round_robin_scheduling 0
		.amdhsa_exception_fp_ieee_invalid_op 0
		.amdhsa_exception_fp_denorm_src 0
		.amdhsa_exception_fp_ieee_div_zero 0
		.amdhsa_exception_fp_ieee_overflow 0
		.amdhsa_exception_fp_ieee_underflow 0
		.amdhsa_exception_fp_ieee_inexact 0
		.amdhsa_exception_int_div_zero 0
	.end_amdhsa_kernel
	.section	.text._ZN9rocsparseL27csrsv_analysis_lower_kernelILj1024ELj64ELb0EilEEvT3_PKT2_PKS1_PS2_PiS7_PS1_21rocsparse_index_base_20rocsparse_diag_type_,"axG",@progbits,_ZN9rocsparseL27csrsv_analysis_lower_kernelILj1024ELj64ELb0EilEEvT3_PKT2_PKS1_PS2_PiS7_PS1_21rocsparse_index_base_20rocsparse_diag_type_,comdat
.Lfunc_end23:
	.size	_ZN9rocsparseL27csrsv_analysis_lower_kernelILj1024ELj64ELb0EilEEvT3_PKT2_PKS1_PS2_PiS7_PS1_21rocsparse_index_base_20rocsparse_diag_type_, .Lfunc_end23-_ZN9rocsparseL27csrsv_analysis_lower_kernelILj1024ELj64ELb0EilEEvT3_PKT2_PKS1_PS2_PiS7_PS1_21rocsparse_index_base_20rocsparse_diag_type_
                                        ; -- End function
	.set _ZN9rocsparseL27csrsv_analysis_lower_kernelILj1024ELj64ELb0EilEEvT3_PKT2_PKS1_PS2_PiS7_PS1_21rocsparse_index_base_20rocsparse_diag_type_.num_vgpr, 15
	.set _ZN9rocsparseL27csrsv_analysis_lower_kernelILj1024ELj64ELb0EilEEvT3_PKT2_PKS1_PS2_PiS7_PS1_21rocsparse_index_base_20rocsparse_diag_type_.num_agpr, 0
	.set _ZN9rocsparseL27csrsv_analysis_lower_kernelILj1024ELj64ELb0EilEEvT3_PKT2_PKS1_PS2_PiS7_PS1_21rocsparse_index_base_20rocsparse_diag_type_.numbered_sgpr, 22
	.set _ZN9rocsparseL27csrsv_analysis_lower_kernelILj1024ELj64ELb0EilEEvT3_PKT2_PKS1_PS2_PiS7_PS1_21rocsparse_index_base_20rocsparse_diag_type_.num_named_barrier, 0
	.set _ZN9rocsparseL27csrsv_analysis_lower_kernelILj1024ELj64ELb0EilEEvT3_PKT2_PKS1_PS2_PiS7_PS1_21rocsparse_index_base_20rocsparse_diag_type_.private_seg_size, 0
	.set _ZN9rocsparseL27csrsv_analysis_lower_kernelILj1024ELj64ELb0EilEEvT3_PKT2_PKS1_PS2_PiS7_PS1_21rocsparse_index_base_20rocsparse_diag_type_.uses_vcc, 1
	.set _ZN9rocsparseL27csrsv_analysis_lower_kernelILj1024ELj64ELb0EilEEvT3_PKT2_PKS1_PS2_PiS7_PS1_21rocsparse_index_base_20rocsparse_diag_type_.uses_flat_scratch, 0
	.set _ZN9rocsparseL27csrsv_analysis_lower_kernelILj1024ELj64ELb0EilEEvT3_PKT2_PKS1_PS2_PiS7_PS1_21rocsparse_index_base_20rocsparse_diag_type_.has_dyn_sized_stack, 0
	.set _ZN9rocsparseL27csrsv_analysis_lower_kernelILj1024ELj64ELb0EilEEvT3_PKT2_PKS1_PS2_PiS7_PS1_21rocsparse_index_base_20rocsparse_diag_type_.has_recursion, 0
	.set _ZN9rocsparseL27csrsv_analysis_lower_kernelILj1024ELj64ELb0EilEEvT3_PKT2_PKS1_PS2_PiS7_PS1_21rocsparse_index_base_20rocsparse_diag_type_.has_indirect_call, 0
	.section	.AMDGPU.csdata,"",@progbits
; Kernel info:
; codeLenInByte = 1292
; TotalNumSgprs: 24
; NumVgprs: 15
; ScratchSize: 0
; MemoryBound: 0
; FloatMode: 240
; IeeeMode: 1
; LDSByteSize: 64 bytes/workgroup (compile time only)
; SGPRBlocks: 0
; VGPRBlocks: 0
; NumSGPRsForWavesPerEU: 24
; NumVGPRsForWavesPerEU: 15
; NamedBarCnt: 0
; Occupancy: 16
; WaveLimiterHint : 1
; COMPUTE_PGM_RSRC2:SCRATCH_EN: 0
; COMPUTE_PGM_RSRC2:USER_SGPR: 2
; COMPUTE_PGM_RSRC2:TRAP_HANDLER: 0
; COMPUTE_PGM_RSRC2:TGID_X_EN: 1
; COMPUTE_PGM_RSRC2:TGID_Y_EN: 0
; COMPUTE_PGM_RSRC2:TGID_Z_EN: 0
; COMPUTE_PGM_RSRC2:TIDIG_COMP_CNT: 0
	.section	.AMDGPU.gpr_maximums,"",@progbits
	.set amdgpu.max_num_vgpr, 0
	.set amdgpu.max_num_agpr, 0
	.set amdgpu.max_num_sgpr, 0
	.section	.AMDGPU.csdata,"",@progbits
	.type	__hip_cuid_e38d70c41f238cc,@object ; @__hip_cuid_e38d70c41f238cc
	.section	.bss,"aw",@nobits
	.globl	__hip_cuid_e38d70c41f238cc
__hip_cuid_e38d70c41f238cc:
	.byte	0                               ; 0x0
	.size	__hip_cuid_e38d70c41f238cc, 1

	.ident	"AMD clang version 22.0.0git (https://github.com/RadeonOpenCompute/llvm-project roc-7.2.4 26084 f58b06dce1f9c15707c5f808fd002e18c2accf7e)"
	.section	".note.GNU-stack","",@progbits
	.addrsig
	.addrsig_sym __hip_cuid_e38d70c41f238cc
	.amdgpu_metadata
---
amdhsa.kernels:
  - .args:
      - .offset:         0
        .size:           4
        .value_kind:     by_value
      - .actual_access:  read_only
        .address_space:  global
        .offset:         8
        .size:           8
        .value_kind:     global_buffer
      - .actual_access:  read_only
        .address_space:  global
        .offset:         16
        .size:           8
        .value_kind:     global_buffer
      - .address_space:  global
        .offset:         24
        .size:           8
        .value_kind:     global_buffer
      - .address_space:  global
        .offset:         32
        .size:           8
        .value_kind:     global_buffer
      - .address_space:  global
        .offset:         40
        .size:           8
        .value_kind:     global_buffer
      - .address_space:  global
        .offset:         48
        .size:           8
        .value_kind:     global_buffer
      - .offset:         56
        .size:           4
        .value_kind:     by_value
      - .offset:         60
        .size:           4
        .value_kind:     by_value
    .group_segment_fixed_size: 64
    .kernarg_segment_align: 8
    .kernarg_segment_size: 64
    .language:       OpenCL C
    .language_version:
      - 2
      - 0
    .max_flat_workgroup_size: 1024
    .name:           _ZN9rocsparseL27csrsv_analysis_upper_kernelILj1024ELj64ELb1EiiEEvT3_PKT2_PKS1_PS2_PiS7_PS1_21rocsparse_index_base_20rocsparse_diag_type_
    .private_segment_fixed_size: 0
    .sgpr_count:     25
    .sgpr_spill_count: 0
    .symbol:         _ZN9rocsparseL27csrsv_analysis_upper_kernelILj1024ELj64ELb1EiiEEvT3_PKT2_PKS1_PS2_PiS7_PS1_21rocsparse_index_base_20rocsparse_diag_type_.kd
    .uniform_work_group_size: 1
    .uses_dynamic_stack: false
    .vgpr_count:     14
    .vgpr_spill_count: 0
    .wavefront_size: 32
  - .args:
      - .offset:         0
        .size:           4
        .value_kind:     by_value
      - .actual_access:  read_only
        .address_space:  global
        .offset:         8
        .size:           8
        .value_kind:     global_buffer
      - .actual_access:  read_only
        .address_space:  global
        .offset:         16
        .size:           8
        .value_kind:     global_buffer
      - .address_space:  global
        .offset:         24
        .size:           8
        .value_kind:     global_buffer
      - .address_space:  global
        .offset:         32
        .size:           8
        .value_kind:     global_buffer
      - .address_space:  global
        .offset:         40
        .size:           8
        .value_kind:     global_buffer
      - .address_space:  global
        .offset:         48
        .size:           8
        .value_kind:     global_buffer
      - .offset:         56
        .size:           4
        .value_kind:     by_value
      - .offset:         60
        .size:           4
        .value_kind:     by_value
    .group_segment_fixed_size: 64
    .kernarg_segment_align: 8
    .kernarg_segment_size: 64
    .language:       OpenCL C
    .language_version:
      - 2
      - 0
    .max_flat_workgroup_size: 1024
    .name:           _ZN9rocsparseL27csrsv_analysis_lower_kernelILj1024ELj64ELb1EiiEEvT3_PKT2_PKS1_PS2_PiS7_PS1_21rocsparse_index_base_20rocsparse_diag_type_
    .private_segment_fixed_size: 0
    .sgpr_count:     23
    .sgpr_spill_count: 0
    .symbol:         _ZN9rocsparseL27csrsv_analysis_lower_kernelILj1024ELj64ELb1EiiEEvT3_PKT2_PKS1_PS2_PiS7_PS1_21rocsparse_index_base_20rocsparse_diag_type_.kd
    .uniform_work_group_size: 1
    .uses_dynamic_stack: false
    .vgpr_count:     14
    .vgpr_spill_count: 0
    .wavefront_size: 32
  - .args:
      - .offset:         0
        .size:           4
        .value_kind:     by_value
      - .actual_access:  read_only
        .address_space:  global
        .offset:         8
        .size:           8
        .value_kind:     global_buffer
      - .actual_access:  read_only
        .address_space:  global
        .offset:         16
        .size:           8
        .value_kind:     global_buffer
      - .address_space:  global
        .offset:         24
        .size:           8
        .value_kind:     global_buffer
      - .address_space:  global
        .offset:         32
        .size:           8
        .value_kind:     global_buffer
      - .address_space:  global
        .offset:         40
        .size:           8
        .value_kind:     global_buffer
      - .address_space:  global
        .offset:         48
        .size:           8
        .value_kind:     global_buffer
      - .offset:         56
        .size:           4
        .value_kind:     by_value
      - .offset:         60
        .size:           4
        .value_kind:     by_value
    .group_segment_fixed_size: 128
    .kernarg_segment_align: 8
    .kernarg_segment_size: 64
    .language:       OpenCL C
    .language_version:
      - 2
      - 0
    .max_flat_workgroup_size: 1024
    .name:           _ZN9rocsparseL27csrsv_analysis_upper_kernelILj1024ELj32ELb0EiiEEvT3_PKT2_PKS1_PS2_PiS7_PS1_21rocsparse_index_base_20rocsparse_diag_type_
    .private_segment_fixed_size: 0
    .sgpr_count:     23
    .sgpr_spill_count: 0
    .symbol:         _ZN9rocsparseL27csrsv_analysis_upper_kernelILj1024ELj32ELb0EiiEEvT3_PKT2_PKS1_PS2_PiS7_PS1_21rocsparse_index_base_20rocsparse_diag_type_.kd
    .uniform_work_group_size: 1
    .uses_dynamic_stack: false
    .vgpr_count:     14
    .vgpr_spill_count: 0
    .wavefront_size: 32
  - .args:
      - .offset:         0
        .size:           4
        .value_kind:     by_value
      - .actual_access:  read_only
        .address_space:  global
        .offset:         8
        .size:           8
        .value_kind:     global_buffer
      - .actual_access:  read_only
        .address_space:  global
        .offset:         16
        .size:           8
        .value_kind:     global_buffer
      - .address_space:  global
        .offset:         24
        .size:           8
        .value_kind:     global_buffer
      - .address_space:  global
        .offset:         32
        .size:           8
        .value_kind:     global_buffer
      - .address_space:  global
        .offset:         40
        .size:           8
        .value_kind:     global_buffer
      - .address_space:  global
        .offset:         48
        .size:           8
        .value_kind:     global_buffer
      - .offset:         56
        .size:           4
        .value_kind:     by_value
      - .offset:         60
        .size:           4
        .value_kind:     by_value
    .group_segment_fixed_size: 128
    .kernarg_segment_align: 8
    .kernarg_segment_size: 64
    .language:       OpenCL C
    .language_version:
      - 2
      - 0
    .max_flat_workgroup_size: 1024
    .name:           _ZN9rocsparseL27csrsv_analysis_lower_kernelILj1024ELj32ELb0EiiEEvT3_PKT2_PKS1_PS2_PiS7_PS1_21rocsparse_index_base_20rocsparse_diag_type_
    .private_segment_fixed_size: 0
    .sgpr_count:     21
    .sgpr_spill_count: 0
    .symbol:         _ZN9rocsparseL27csrsv_analysis_lower_kernelILj1024ELj32ELb0EiiEEvT3_PKT2_PKS1_PS2_PiS7_PS1_21rocsparse_index_base_20rocsparse_diag_type_.kd
    .uniform_work_group_size: 1
    .uses_dynamic_stack: false
    .vgpr_count:     14
    .vgpr_spill_count: 0
    .wavefront_size: 32
  - .args:
      - .offset:         0
        .size:           4
        .value_kind:     by_value
      - .actual_access:  read_only
        .address_space:  global
        .offset:         8
        .size:           8
        .value_kind:     global_buffer
      - .actual_access:  read_only
        .address_space:  global
        .offset:         16
        .size:           8
        .value_kind:     global_buffer
      - .address_space:  global
        .offset:         24
        .size:           8
        .value_kind:     global_buffer
      - .address_space:  global
        .offset:         32
        .size:           8
        .value_kind:     global_buffer
      - .address_space:  global
        .offset:         40
        .size:           8
        .value_kind:     global_buffer
      - .address_space:  global
        .offset:         48
        .size:           8
        .value_kind:     global_buffer
      - .offset:         56
        .size:           4
        .value_kind:     by_value
      - .offset:         60
        .size:           4
        .value_kind:     by_value
    .group_segment_fixed_size: 64
    .kernarg_segment_align: 8
    .kernarg_segment_size: 64
    .language:       OpenCL C
    .language_version:
      - 2
      - 0
    .max_flat_workgroup_size: 1024
    .name:           _ZN9rocsparseL27csrsv_analysis_upper_kernelILj1024ELj64ELb0EiiEEvT3_PKT2_PKS1_PS2_PiS7_PS1_21rocsparse_index_base_20rocsparse_diag_type_
    .private_segment_fixed_size: 0
    .sgpr_count:     23
    .sgpr_spill_count: 0
    .symbol:         _ZN9rocsparseL27csrsv_analysis_upper_kernelILj1024ELj64ELb0EiiEEvT3_PKT2_PKS1_PS2_PiS7_PS1_21rocsparse_index_base_20rocsparse_diag_type_.kd
    .uniform_work_group_size: 1
    .uses_dynamic_stack: false
    .vgpr_count:     14
    .vgpr_spill_count: 0
    .wavefront_size: 32
  - .args:
      - .offset:         0
        .size:           4
        .value_kind:     by_value
      - .actual_access:  read_only
        .address_space:  global
        .offset:         8
        .size:           8
        .value_kind:     global_buffer
      - .actual_access:  read_only
        .address_space:  global
        .offset:         16
        .size:           8
        .value_kind:     global_buffer
      - .address_space:  global
        .offset:         24
        .size:           8
        .value_kind:     global_buffer
      - .address_space:  global
        .offset:         32
        .size:           8
        .value_kind:     global_buffer
      - .address_space:  global
        .offset:         40
        .size:           8
        .value_kind:     global_buffer
      - .address_space:  global
        .offset:         48
        .size:           8
        .value_kind:     global_buffer
      - .offset:         56
        .size:           4
        .value_kind:     by_value
      - .offset:         60
        .size:           4
        .value_kind:     by_value
    .group_segment_fixed_size: 64
    .kernarg_segment_align: 8
    .kernarg_segment_size: 64
    .language:       OpenCL C
    .language_version:
      - 2
      - 0
    .max_flat_workgroup_size: 1024
    .name:           _ZN9rocsparseL27csrsv_analysis_lower_kernelILj1024ELj64ELb0EiiEEvT3_PKT2_PKS1_PS2_PiS7_PS1_21rocsparse_index_base_20rocsparse_diag_type_
    .private_segment_fixed_size: 0
    .sgpr_count:     21
    .sgpr_spill_count: 0
    .symbol:         _ZN9rocsparseL27csrsv_analysis_lower_kernelILj1024ELj64ELb0EiiEEvT3_PKT2_PKS1_PS2_PiS7_PS1_21rocsparse_index_base_20rocsparse_diag_type_.kd
    .uniform_work_group_size: 1
    .uses_dynamic_stack: false
    .vgpr_count:     14
    .vgpr_spill_count: 0
    .wavefront_size: 32
  - .args:
      - .offset:         0
        .size:           4
        .value_kind:     by_value
      - .actual_access:  read_only
        .address_space:  global
        .offset:         8
        .size:           8
        .value_kind:     global_buffer
      - .actual_access:  read_only
        .address_space:  global
        .offset:         16
        .size:           8
        .value_kind:     global_buffer
      - .address_space:  global
        .offset:         24
        .size:           8
        .value_kind:     global_buffer
      - .address_space:  global
        .offset:         32
        .size:           8
        .value_kind:     global_buffer
      - .address_space:  global
        .offset:         40
        .size:           8
        .value_kind:     global_buffer
      - .address_space:  global
        .offset:         48
        .size:           8
        .value_kind:     global_buffer
      - .offset:         56
        .size:           4
        .value_kind:     by_value
      - .offset:         60
        .size:           4
        .value_kind:     by_value
    .group_segment_fixed_size: 64
    .kernarg_segment_align: 8
    .kernarg_segment_size: 64
    .language:       OpenCL C
    .language_version:
      - 2
      - 0
    .max_flat_workgroup_size: 1024
    .name:           _ZN9rocsparseL27csrsv_analysis_upper_kernelILj1024ELj64ELb1EliEEvT3_PKT2_PKS1_PS2_PiS7_PS1_21rocsparse_index_base_20rocsparse_diag_type_
    .private_segment_fixed_size: 0
    .sgpr_count:     27
    .sgpr_spill_count: 0
    .symbol:         _ZN9rocsparseL27csrsv_analysis_upper_kernelILj1024ELj64ELb1EliEEvT3_PKT2_PKS1_PS2_PiS7_PS1_21rocsparse_index_base_20rocsparse_diag_type_.kd
    .uniform_work_group_size: 1
    .uses_dynamic_stack: false
    .vgpr_count:     18
    .vgpr_spill_count: 0
    .wavefront_size: 32
  - .args:
      - .offset:         0
        .size:           4
        .value_kind:     by_value
      - .actual_access:  read_only
        .address_space:  global
        .offset:         8
        .size:           8
        .value_kind:     global_buffer
      - .actual_access:  read_only
        .address_space:  global
        .offset:         16
        .size:           8
        .value_kind:     global_buffer
      - .address_space:  global
        .offset:         24
        .size:           8
        .value_kind:     global_buffer
      - .address_space:  global
        .offset:         32
        .size:           8
        .value_kind:     global_buffer
      - .address_space:  global
        .offset:         40
        .size:           8
        .value_kind:     global_buffer
      - .address_space:  global
        .offset:         48
        .size:           8
        .value_kind:     global_buffer
      - .offset:         56
        .size:           4
        .value_kind:     by_value
      - .offset:         60
        .size:           4
        .value_kind:     by_value
    .group_segment_fixed_size: 64
    .kernarg_segment_align: 8
    .kernarg_segment_size: 64
    .language:       OpenCL C
    .language_version:
      - 2
      - 0
    .max_flat_workgroup_size: 1024
    .name:           _ZN9rocsparseL27csrsv_analysis_lower_kernelILj1024ELj64ELb1EliEEvT3_PKT2_PKS1_PS2_PiS7_PS1_21rocsparse_index_base_20rocsparse_diag_type_
    .private_segment_fixed_size: 0
    .sgpr_count:     23
    .sgpr_spill_count: 0
    .symbol:         _ZN9rocsparseL27csrsv_analysis_lower_kernelILj1024ELj64ELb1EliEEvT3_PKT2_PKS1_PS2_PiS7_PS1_21rocsparse_index_base_20rocsparse_diag_type_.kd
    .uniform_work_group_size: 1
    .uses_dynamic_stack: false
    .vgpr_count:     18
    .vgpr_spill_count: 0
    .wavefront_size: 32
  - .args:
      - .offset:         0
        .size:           4
        .value_kind:     by_value
      - .actual_access:  read_only
        .address_space:  global
        .offset:         8
        .size:           8
        .value_kind:     global_buffer
      - .actual_access:  read_only
        .address_space:  global
        .offset:         16
        .size:           8
        .value_kind:     global_buffer
      - .address_space:  global
        .offset:         24
        .size:           8
        .value_kind:     global_buffer
      - .address_space:  global
        .offset:         32
        .size:           8
        .value_kind:     global_buffer
      - .address_space:  global
        .offset:         40
        .size:           8
        .value_kind:     global_buffer
      - .address_space:  global
        .offset:         48
        .size:           8
        .value_kind:     global_buffer
      - .offset:         56
        .size:           4
        .value_kind:     by_value
      - .offset:         60
        .size:           4
        .value_kind:     by_value
    .group_segment_fixed_size: 128
    .kernarg_segment_align: 8
    .kernarg_segment_size: 64
    .language:       OpenCL C
    .language_version:
      - 2
      - 0
    .max_flat_workgroup_size: 1024
    .name:           _ZN9rocsparseL27csrsv_analysis_upper_kernelILj1024ELj32ELb0EliEEvT3_PKT2_PKS1_PS2_PiS7_PS1_21rocsparse_index_base_20rocsparse_diag_type_
    .private_segment_fixed_size: 0
    .sgpr_count:     25
    .sgpr_spill_count: 0
    .symbol:         _ZN9rocsparseL27csrsv_analysis_upper_kernelILj1024ELj32ELb0EliEEvT3_PKT2_PKS1_PS2_PiS7_PS1_21rocsparse_index_base_20rocsparse_diag_type_.kd
    .uniform_work_group_size: 1
    .uses_dynamic_stack: false
    .vgpr_count:     18
    .vgpr_spill_count: 0
    .wavefront_size: 32
  - .args:
      - .offset:         0
        .size:           4
        .value_kind:     by_value
      - .actual_access:  read_only
        .address_space:  global
        .offset:         8
        .size:           8
        .value_kind:     global_buffer
      - .actual_access:  read_only
        .address_space:  global
        .offset:         16
        .size:           8
        .value_kind:     global_buffer
      - .address_space:  global
        .offset:         24
        .size:           8
        .value_kind:     global_buffer
      - .address_space:  global
        .offset:         32
        .size:           8
        .value_kind:     global_buffer
      - .address_space:  global
        .offset:         40
        .size:           8
        .value_kind:     global_buffer
      - .address_space:  global
        .offset:         48
        .size:           8
        .value_kind:     global_buffer
      - .offset:         56
        .size:           4
        .value_kind:     by_value
      - .offset:         60
        .size:           4
        .value_kind:     by_value
    .group_segment_fixed_size: 128
    .kernarg_segment_align: 8
    .kernarg_segment_size: 64
    .language:       OpenCL C
    .language_version:
      - 2
      - 0
    .max_flat_workgroup_size: 1024
    .name:           _ZN9rocsparseL27csrsv_analysis_lower_kernelILj1024ELj32ELb0EliEEvT3_PKT2_PKS1_PS2_PiS7_PS1_21rocsparse_index_base_20rocsparse_diag_type_
    .private_segment_fixed_size: 0
    .sgpr_count:     21
    .sgpr_spill_count: 0
    .symbol:         _ZN9rocsparseL27csrsv_analysis_lower_kernelILj1024ELj32ELb0EliEEvT3_PKT2_PKS1_PS2_PiS7_PS1_21rocsparse_index_base_20rocsparse_diag_type_.kd
    .uniform_work_group_size: 1
    .uses_dynamic_stack: false
    .vgpr_count:     18
    .vgpr_spill_count: 0
    .wavefront_size: 32
  - .args:
      - .offset:         0
        .size:           4
        .value_kind:     by_value
      - .actual_access:  read_only
        .address_space:  global
        .offset:         8
        .size:           8
        .value_kind:     global_buffer
      - .actual_access:  read_only
        .address_space:  global
        .offset:         16
        .size:           8
        .value_kind:     global_buffer
      - .address_space:  global
        .offset:         24
        .size:           8
        .value_kind:     global_buffer
      - .address_space:  global
        .offset:         32
        .size:           8
        .value_kind:     global_buffer
      - .address_space:  global
        .offset:         40
        .size:           8
        .value_kind:     global_buffer
      - .address_space:  global
        .offset:         48
        .size:           8
        .value_kind:     global_buffer
      - .offset:         56
        .size:           4
        .value_kind:     by_value
      - .offset:         60
        .size:           4
        .value_kind:     by_value
    .group_segment_fixed_size: 64
    .kernarg_segment_align: 8
    .kernarg_segment_size: 64
    .language:       OpenCL C
    .language_version:
      - 2
      - 0
    .max_flat_workgroup_size: 1024
    .name:           _ZN9rocsparseL27csrsv_analysis_upper_kernelILj1024ELj64ELb0EliEEvT3_PKT2_PKS1_PS2_PiS7_PS1_21rocsparse_index_base_20rocsparse_diag_type_
    .private_segment_fixed_size: 0
    .sgpr_count:     25
    .sgpr_spill_count: 0
    .symbol:         _ZN9rocsparseL27csrsv_analysis_upper_kernelILj1024ELj64ELb0EliEEvT3_PKT2_PKS1_PS2_PiS7_PS1_21rocsparse_index_base_20rocsparse_diag_type_.kd
    .uniform_work_group_size: 1
    .uses_dynamic_stack: false
    .vgpr_count:     18
    .vgpr_spill_count: 0
    .wavefront_size: 32
  - .args:
      - .offset:         0
        .size:           4
        .value_kind:     by_value
      - .actual_access:  read_only
        .address_space:  global
        .offset:         8
        .size:           8
        .value_kind:     global_buffer
      - .actual_access:  read_only
        .address_space:  global
        .offset:         16
        .size:           8
        .value_kind:     global_buffer
      - .address_space:  global
        .offset:         24
        .size:           8
        .value_kind:     global_buffer
      - .address_space:  global
        .offset:         32
        .size:           8
        .value_kind:     global_buffer
      - .address_space:  global
        .offset:         40
        .size:           8
        .value_kind:     global_buffer
      - .address_space:  global
        .offset:         48
        .size:           8
        .value_kind:     global_buffer
      - .offset:         56
        .size:           4
        .value_kind:     by_value
      - .offset:         60
        .size:           4
        .value_kind:     by_value
    .group_segment_fixed_size: 64
    .kernarg_segment_align: 8
    .kernarg_segment_size: 64
    .language:       OpenCL C
    .language_version:
      - 2
      - 0
    .max_flat_workgroup_size: 1024
    .name:           _ZN9rocsparseL27csrsv_analysis_lower_kernelILj1024ELj64ELb0EliEEvT3_PKT2_PKS1_PS2_PiS7_PS1_21rocsparse_index_base_20rocsparse_diag_type_
    .private_segment_fixed_size: 0
    .sgpr_count:     21
    .sgpr_spill_count: 0
    .symbol:         _ZN9rocsparseL27csrsv_analysis_lower_kernelILj1024ELj64ELb0EliEEvT3_PKT2_PKS1_PS2_PiS7_PS1_21rocsparse_index_base_20rocsparse_diag_type_.kd
    .uniform_work_group_size: 1
    .uses_dynamic_stack: false
    .vgpr_count:     18
    .vgpr_spill_count: 0
    .wavefront_size: 32
  - .args:
      - .offset:         0
        .size:           8
        .value_kind:     by_value
      - .actual_access:  read_only
        .address_space:  global
        .offset:         8
        .size:           8
        .value_kind:     global_buffer
      - .actual_access:  read_only
        .address_space:  global
        .offset:         16
        .size:           8
        .value_kind:     global_buffer
      - .address_space:  global
        .offset:         24
        .size:           8
        .value_kind:     global_buffer
      - .address_space:  global
        .offset:         32
        .size:           8
        .value_kind:     global_buffer
      - .address_space:  global
        .offset:         40
        .size:           8
        .value_kind:     global_buffer
      - .address_space:  global
        .offset:         48
        .size:           8
        .value_kind:     global_buffer
      - .offset:         56
        .size:           4
        .value_kind:     by_value
      - .offset:         60
        .size:           4
        .value_kind:     by_value
    .group_segment_fixed_size: 64
    .kernarg_segment_align: 8
    .kernarg_segment_size: 64
    .language:       OpenCL C
    .language_version:
      - 2
      - 0
    .max_flat_workgroup_size: 1024
    .name:           _ZN9rocsparseL27csrsv_analysis_upper_kernelILj1024ELj64ELb1EllEEvT3_PKT2_PKS1_PS2_PiS7_PS1_21rocsparse_index_base_20rocsparse_diag_type_
    .private_segment_fixed_size: 0
    .sgpr_count:     29
    .sgpr_spill_count: 0
    .symbol:         _ZN9rocsparseL27csrsv_analysis_upper_kernelILj1024ELj64ELb1EllEEvT3_PKT2_PKS1_PS2_PiS7_PS1_21rocsparse_index_base_20rocsparse_diag_type_.kd
    .uniform_work_group_size: 1
    .uses_dynamic_stack: false
    .vgpr_count:     18
    .vgpr_spill_count: 0
    .wavefront_size: 32
  - .args:
      - .offset:         0
        .size:           8
        .value_kind:     by_value
      - .actual_access:  read_only
        .address_space:  global
        .offset:         8
        .size:           8
        .value_kind:     global_buffer
      - .actual_access:  read_only
        .address_space:  global
        .offset:         16
        .size:           8
        .value_kind:     global_buffer
      - .address_space:  global
        .offset:         24
        .size:           8
        .value_kind:     global_buffer
      - .address_space:  global
        .offset:         32
        .size:           8
        .value_kind:     global_buffer
      - .address_space:  global
        .offset:         40
        .size:           8
        .value_kind:     global_buffer
      - .address_space:  global
        .offset:         48
        .size:           8
        .value_kind:     global_buffer
      - .offset:         56
        .size:           4
        .value_kind:     by_value
      - .offset:         60
        .size:           4
        .value_kind:     by_value
    .group_segment_fixed_size: 64
    .kernarg_segment_align: 8
    .kernarg_segment_size: 64
    .language:       OpenCL C
    .language_version:
      - 2
      - 0
    .max_flat_workgroup_size: 1024
    .name:           _ZN9rocsparseL27csrsv_analysis_lower_kernelILj1024ELj64ELb1EllEEvT3_PKT2_PKS1_PS2_PiS7_PS1_21rocsparse_index_base_20rocsparse_diag_type_
    .private_segment_fixed_size: 0
    .sgpr_count:     25
    .sgpr_spill_count: 0
    .symbol:         _ZN9rocsparseL27csrsv_analysis_lower_kernelILj1024ELj64ELb1EllEEvT3_PKT2_PKS1_PS2_PiS7_PS1_21rocsparse_index_base_20rocsparse_diag_type_.kd
    .uniform_work_group_size: 1
    .uses_dynamic_stack: false
    .vgpr_count:     18
    .vgpr_spill_count: 0
    .wavefront_size: 32
  - .args:
      - .offset:         0
        .size:           8
        .value_kind:     by_value
      - .actual_access:  read_only
        .address_space:  global
        .offset:         8
        .size:           8
        .value_kind:     global_buffer
      - .actual_access:  read_only
        .address_space:  global
        .offset:         16
        .size:           8
        .value_kind:     global_buffer
      - .address_space:  global
        .offset:         24
        .size:           8
        .value_kind:     global_buffer
      - .address_space:  global
        .offset:         32
        .size:           8
        .value_kind:     global_buffer
      - .address_space:  global
        .offset:         40
        .size:           8
        .value_kind:     global_buffer
      - .address_space:  global
        .offset:         48
        .size:           8
        .value_kind:     global_buffer
      - .offset:         56
        .size:           4
        .value_kind:     by_value
      - .offset:         60
        .size:           4
        .value_kind:     by_value
    .group_segment_fixed_size: 128
    .kernarg_segment_align: 8
    .kernarg_segment_size: 64
    .language:       OpenCL C
    .language_version:
      - 2
      - 0
    .max_flat_workgroup_size: 1024
    .name:           _ZN9rocsparseL27csrsv_analysis_upper_kernelILj1024ELj32ELb0EllEEvT3_PKT2_PKS1_PS2_PiS7_PS1_21rocsparse_index_base_20rocsparse_diag_type_
    .private_segment_fixed_size: 0
    .sgpr_count:     27
    .sgpr_spill_count: 0
    .symbol:         _ZN9rocsparseL27csrsv_analysis_upper_kernelILj1024ELj32ELb0EllEEvT3_PKT2_PKS1_PS2_PiS7_PS1_21rocsparse_index_base_20rocsparse_diag_type_.kd
    .uniform_work_group_size: 1
    .uses_dynamic_stack: false
    .vgpr_count:     18
    .vgpr_spill_count: 0
    .wavefront_size: 32
  - .args:
      - .offset:         0
        .size:           8
        .value_kind:     by_value
      - .actual_access:  read_only
        .address_space:  global
        .offset:         8
        .size:           8
        .value_kind:     global_buffer
      - .actual_access:  read_only
        .address_space:  global
        .offset:         16
        .size:           8
        .value_kind:     global_buffer
      - .address_space:  global
        .offset:         24
        .size:           8
        .value_kind:     global_buffer
      - .address_space:  global
        .offset:         32
        .size:           8
        .value_kind:     global_buffer
      - .address_space:  global
        .offset:         40
        .size:           8
        .value_kind:     global_buffer
      - .address_space:  global
        .offset:         48
        .size:           8
        .value_kind:     global_buffer
      - .offset:         56
        .size:           4
        .value_kind:     by_value
      - .offset:         60
        .size:           4
        .value_kind:     by_value
    .group_segment_fixed_size: 128
    .kernarg_segment_align: 8
    .kernarg_segment_size: 64
    .language:       OpenCL C
    .language_version:
      - 2
      - 0
    .max_flat_workgroup_size: 1024
    .name:           _ZN9rocsparseL27csrsv_analysis_lower_kernelILj1024ELj32ELb0EllEEvT3_PKT2_PKS1_PS2_PiS7_PS1_21rocsparse_index_base_20rocsparse_diag_type_
    .private_segment_fixed_size: 0
    .sgpr_count:     23
    .sgpr_spill_count: 0
    .symbol:         _ZN9rocsparseL27csrsv_analysis_lower_kernelILj1024ELj32ELb0EllEEvT3_PKT2_PKS1_PS2_PiS7_PS1_21rocsparse_index_base_20rocsparse_diag_type_.kd
    .uniform_work_group_size: 1
    .uses_dynamic_stack: false
    .vgpr_count:     18
    .vgpr_spill_count: 0
    .wavefront_size: 32
  - .args:
      - .offset:         0
        .size:           8
        .value_kind:     by_value
      - .actual_access:  read_only
        .address_space:  global
        .offset:         8
        .size:           8
        .value_kind:     global_buffer
      - .actual_access:  read_only
        .address_space:  global
        .offset:         16
        .size:           8
        .value_kind:     global_buffer
      - .address_space:  global
        .offset:         24
        .size:           8
        .value_kind:     global_buffer
      - .address_space:  global
        .offset:         32
        .size:           8
        .value_kind:     global_buffer
      - .address_space:  global
        .offset:         40
        .size:           8
        .value_kind:     global_buffer
      - .address_space:  global
        .offset:         48
        .size:           8
        .value_kind:     global_buffer
      - .offset:         56
        .size:           4
        .value_kind:     by_value
      - .offset:         60
        .size:           4
        .value_kind:     by_value
    .group_segment_fixed_size: 64
    .kernarg_segment_align: 8
    .kernarg_segment_size: 64
    .language:       OpenCL C
    .language_version:
      - 2
      - 0
    .max_flat_workgroup_size: 1024
    .name:           _ZN9rocsparseL27csrsv_analysis_upper_kernelILj1024ELj64ELb0EllEEvT3_PKT2_PKS1_PS2_PiS7_PS1_21rocsparse_index_base_20rocsparse_diag_type_
    .private_segment_fixed_size: 0
    .sgpr_count:     27
    .sgpr_spill_count: 0
    .symbol:         _ZN9rocsparseL27csrsv_analysis_upper_kernelILj1024ELj64ELb0EllEEvT3_PKT2_PKS1_PS2_PiS7_PS1_21rocsparse_index_base_20rocsparse_diag_type_.kd
    .uniform_work_group_size: 1
    .uses_dynamic_stack: false
    .vgpr_count:     18
    .vgpr_spill_count: 0
    .wavefront_size: 32
  - .args:
      - .offset:         0
        .size:           8
        .value_kind:     by_value
      - .actual_access:  read_only
        .address_space:  global
        .offset:         8
        .size:           8
        .value_kind:     global_buffer
      - .actual_access:  read_only
        .address_space:  global
        .offset:         16
        .size:           8
        .value_kind:     global_buffer
      - .address_space:  global
        .offset:         24
        .size:           8
        .value_kind:     global_buffer
      - .address_space:  global
        .offset:         32
        .size:           8
        .value_kind:     global_buffer
      - .address_space:  global
        .offset:         40
        .size:           8
        .value_kind:     global_buffer
      - .address_space:  global
        .offset:         48
        .size:           8
        .value_kind:     global_buffer
      - .offset:         56
        .size:           4
        .value_kind:     by_value
      - .offset:         60
        .size:           4
        .value_kind:     by_value
    .group_segment_fixed_size: 64
    .kernarg_segment_align: 8
    .kernarg_segment_size: 64
    .language:       OpenCL C
    .language_version:
      - 2
      - 0
    .max_flat_workgroup_size: 1024
    .name:           _ZN9rocsparseL27csrsv_analysis_lower_kernelILj1024ELj64ELb0EllEEvT3_PKT2_PKS1_PS2_PiS7_PS1_21rocsparse_index_base_20rocsparse_diag_type_
    .private_segment_fixed_size: 0
    .sgpr_count:     23
    .sgpr_spill_count: 0
    .symbol:         _ZN9rocsparseL27csrsv_analysis_lower_kernelILj1024ELj64ELb0EllEEvT3_PKT2_PKS1_PS2_PiS7_PS1_21rocsparse_index_base_20rocsparse_diag_type_.kd
    .uniform_work_group_size: 1
    .uses_dynamic_stack: false
    .vgpr_count:     18
    .vgpr_spill_count: 0
    .wavefront_size: 32
  - .args:
      - .offset:         0
        .size:           8
        .value_kind:     by_value
      - .actual_access:  read_only
        .address_space:  global
        .offset:         8
        .size:           8
        .value_kind:     global_buffer
      - .actual_access:  read_only
        .address_space:  global
        .offset:         16
        .size:           8
        .value_kind:     global_buffer
      - .address_space:  global
        .offset:         24
        .size:           8
        .value_kind:     global_buffer
      - .address_space:  global
        .offset:         32
        .size:           8
        .value_kind:     global_buffer
      - .address_space:  global
        .offset:         40
        .size:           8
        .value_kind:     global_buffer
      - .address_space:  global
        .offset:         48
        .size:           8
        .value_kind:     global_buffer
      - .offset:         56
        .size:           4
        .value_kind:     by_value
      - .offset:         60
        .size:           4
        .value_kind:     by_value
    .group_segment_fixed_size: 64
    .kernarg_segment_align: 8
    .kernarg_segment_size: 64
    .language:       OpenCL C
    .language_version:
      - 2
      - 0
    .max_flat_workgroup_size: 1024
    .name:           _ZN9rocsparseL27csrsv_analysis_upper_kernelILj1024ELj64ELb1EilEEvT3_PKT2_PKS1_PS2_PiS7_PS1_21rocsparse_index_base_20rocsparse_diag_type_
    .private_segment_fixed_size: 0
    .sgpr_count:     28
    .sgpr_spill_count: 0
    .symbol:         _ZN9rocsparseL27csrsv_analysis_upper_kernelILj1024ELj64ELb1EilEEvT3_PKT2_PKS1_PS2_PiS7_PS1_21rocsparse_index_base_20rocsparse_diag_type_.kd
    .uniform_work_group_size: 1
    .uses_dynamic_stack: false
    .vgpr_count:     15
    .vgpr_spill_count: 0
    .wavefront_size: 32
  - .args:
      - .offset:         0
        .size:           8
        .value_kind:     by_value
      - .actual_access:  read_only
        .address_space:  global
        .offset:         8
        .size:           8
        .value_kind:     global_buffer
      - .actual_access:  read_only
        .address_space:  global
        .offset:         16
        .size:           8
        .value_kind:     global_buffer
      - .address_space:  global
        .offset:         24
        .size:           8
        .value_kind:     global_buffer
      - .address_space:  global
        .offset:         32
        .size:           8
        .value_kind:     global_buffer
      - .address_space:  global
        .offset:         40
        .size:           8
        .value_kind:     global_buffer
      - .address_space:  global
        .offset:         48
        .size:           8
        .value_kind:     global_buffer
      - .offset:         56
        .size:           4
        .value_kind:     by_value
      - .offset:         60
        .size:           4
        .value_kind:     by_value
    .group_segment_fixed_size: 64
    .kernarg_segment_align: 8
    .kernarg_segment_size: 64
    .language:       OpenCL C
    .language_version:
      - 2
      - 0
    .max_flat_workgroup_size: 1024
    .name:           _ZN9rocsparseL27csrsv_analysis_lower_kernelILj1024ELj64ELb1EilEEvT3_PKT2_PKS1_PS2_PiS7_PS1_21rocsparse_index_base_20rocsparse_diag_type_
    .private_segment_fixed_size: 0
    .sgpr_count:     26
    .sgpr_spill_count: 0
    .symbol:         _ZN9rocsparseL27csrsv_analysis_lower_kernelILj1024ELj64ELb1EilEEvT3_PKT2_PKS1_PS2_PiS7_PS1_21rocsparse_index_base_20rocsparse_diag_type_.kd
    .uniform_work_group_size: 1
    .uses_dynamic_stack: false
    .vgpr_count:     15
    .vgpr_spill_count: 0
    .wavefront_size: 32
  - .args:
      - .offset:         0
        .size:           8
        .value_kind:     by_value
      - .actual_access:  read_only
        .address_space:  global
        .offset:         8
        .size:           8
        .value_kind:     global_buffer
      - .actual_access:  read_only
        .address_space:  global
        .offset:         16
        .size:           8
        .value_kind:     global_buffer
      - .address_space:  global
        .offset:         24
        .size:           8
        .value_kind:     global_buffer
      - .address_space:  global
        .offset:         32
        .size:           8
        .value_kind:     global_buffer
      - .address_space:  global
        .offset:         40
        .size:           8
        .value_kind:     global_buffer
      - .address_space:  global
        .offset:         48
        .size:           8
        .value_kind:     global_buffer
      - .offset:         56
        .size:           4
        .value_kind:     by_value
      - .offset:         60
        .size:           4
        .value_kind:     by_value
    .group_segment_fixed_size: 128
    .kernarg_segment_align: 8
    .kernarg_segment_size: 64
    .language:       OpenCL C
    .language_version:
      - 2
      - 0
    .max_flat_workgroup_size: 1024
    .name:           _ZN9rocsparseL27csrsv_analysis_upper_kernelILj1024ELj32ELb0EilEEvT3_PKT2_PKS1_PS2_PiS7_PS1_21rocsparse_index_base_20rocsparse_diag_type_
    .private_segment_fixed_size: 0
    .sgpr_count:     26
    .sgpr_spill_count: 0
    .symbol:         _ZN9rocsparseL27csrsv_analysis_upper_kernelILj1024ELj32ELb0EilEEvT3_PKT2_PKS1_PS2_PiS7_PS1_21rocsparse_index_base_20rocsparse_diag_type_.kd
    .uniform_work_group_size: 1
    .uses_dynamic_stack: false
    .vgpr_count:     15
    .vgpr_spill_count: 0
    .wavefront_size: 32
  - .args:
      - .offset:         0
        .size:           8
        .value_kind:     by_value
      - .actual_access:  read_only
        .address_space:  global
        .offset:         8
        .size:           8
        .value_kind:     global_buffer
      - .actual_access:  read_only
        .address_space:  global
        .offset:         16
        .size:           8
        .value_kind:     global_buffer
      - .address_space:  global
        .offset:         24
        .size:           8
        .value_kind:     global_buffer
      - .address_space:  global
        .offset:         32
        .size:           8
        .value_kind:     global_buffer
      - .address_space:  global
        .offset:         40
        .size:           8
        .value_kind:     global_buffer
      - .address_space:  global
        .offset:         48
        .size:           8
        .value_kind:     global_buffer
      - .offset:         56
        .size:           4
        .value_kind:     by_value
      - .offset:         60
        .size:           4
        .value_kind:     by_value
    .group_segment_fixed_size: 128
    .kernarg_segment_align: 8
    .kernarg_segment_size: 64
    .language:       OpenCL C
    .language_version:
      - 2
      - 0
    .max_flat_workgroup_size: 1024
    .name:           _ZN9rocsparseL27csrsv_analysis_lower_kernelILj1024ELj32ELb0EilEEvT3_PKT2_PKS1_PS2_PiS7_PS1_21rocsparse_index_base_20rocsparse_diag_type_
    .private_segment_fixed_size: 0
    .sgpr_count:     24
    .sgpr_spill_count: 0
    .symbol:         _ZN9rocsparseL27csrsv_analysis_lower_kernelILj1024ELj32ELb0EilEEvT3_PKT2_PKS1_PS2_PiS7_PS1_21rocsparse_index_base_20rocsparse_diag_type_.kd
    .uniform_work_group_size: 1
    .uses_dynamic_stack: false
    .vgpr_count:     15
    .vgpr_spill_count: 0
    .wavefront_size: 32
  - .args:
      - .offset:         0
        .size:           8
        .value_kind:     by_value
      - .actual_access:  read_only
        .address_space:  global
        .offset:         8
        .size:           8
        .value_kind:     global_buffer
      - .actual_access:  read_only
        .address_space:  global
        .offset:         16
        .size:           8
        .value_kind:     global_buffer
      - .address_space:  global
        .offset:         24
        .size:           8
        .value_kind:     global_buffer
      - .address_space:  global
        .offset:         32
        .size:           8
        .value_kind:     global_buffer
      - .address_space:  global
        .offset:         40
        .size:           8
        .value_kind:     global_buffer
      - .address_space:  global
        .offset:         48
        .size:           8
        .value_kind:     global_buffer
      - .offset:         56
        .size:           4
        .value_kind:     by_value
      - .offset:         60
        .size:           4
        .value_kind:     by_value
    .group_segment_fixed_size: 64
    .kernarg_segment_align: 8
    .kernarg_segment_size: 64
    .language:       OpenCL C
    .language_version:
      - 2
      - 0
    .max_flat_workgroup_size: 1024
    .name:           _ZN9rocsparseL27csrsv_analysis_upper_kernelILj1024ELj64ELb0EilEEvT3_PKT2_PKS1_PS2_PiS7_PS1_21rocsparse_index_base_20rocsparse_diag_type_
    .private_segment_fixed_size: 0
    .sgpr_count:     26
    .sgpr_spill_count: 0
    .symbol:         _ZN9rocsparseL27csrsv_analysis_upper_kernelILj1024ELj64ELb0EilEEvT3_PKT2_PKS1_PS2_PiS7_PS1_21rocsparse_index_base_20rocsparse_diag_type_.kd
    .uniform_work_group_size: 1
    .uses_dynamic_stack: false
    .vgpr_count:     15
    .vgpr_spill_count: 0
    .wavefront_size: 32
  - .args:
      - .offset:         0
        .size:           8
        .value_kind:     by_value
      - .actual_access:  read_only
        .address_space:  global
        .offset:         8
        .size:           8
        .value_kind:     global_buffer
      - .actual_access:  read_only
        .address_space:  global
        .offset:         16
        .size:           8
        .value_kind:     global_buffer
      - .address_space:  global
        .offset:         24
        .size:           8
        .value_kind:     global_buffer
      - .address_space:  global
        .offset:         32
        .size:           8
        .value_kind:     global_buffer
      - .address_space:  global
        .offset:         40
        .size:           8
        .value_kind:     global_buffer
      - .address_space:  global
        .offset:         48
        .size:           8
        .value_kind:     global_buffer
      - .offset:         56
        .size:           4
        .value_kind:     by_value
      - .offset:         60
        .size:           4
        .value_kind:     by_value
    .group_segment_fixed_size: 64
    .kernarg_segment_align: 8
    .kernarg_segment_size: 64
    .language:       OpenCL C
    .language_version:
      - 2
      - 0
    .max_flat_workgroup_size: 1024
    .name:           _ZN9rocsparseL27csrsv_analysis_lower_kernelILj1024ELj64ELb0EilEEvT3_PKT2_PKS1_PS2_PiS7_PS1_21rocsparse_index_base_20rocsparse_diag_type_
    .private_segment_fixed_size: 0
    .sgpr_count:     24
    .sgpr_spill_count: 0
    .symbol:         _ZN9rocsparseL27csrsv_analysis_lower_kernelILj1024ELj64ELb0EilEEvT3_PKT2_PKS1_PS2_PiS7_PS1_21rocsparse_index_base_20rocsparse_diag_type_.kd
    .uniform_work_group_size: 1
    .uses_dynamic_stack: false
    .vgpr_count:     15
    .vgpr_spill_count: 0
    .wavefront_size: 32
amdhsa.target:   amdgcn-amd-amdhsa--gfx1250
amdhsa.version:
  - 1
  - 2
...

	.end_amdgpu_metadata
